;; amdgpu-corpus repo=ROCm/rocFFT kind=compiled arch=gfx906 opt=O3
	.text
	.amdgcn_target "amdgcn-amd-amdhsa--gfx906"
	.amdhsa_code_object_version 6
	.protected	fft_rtc_back_len1890_factors_2_3_3_3_7_5_wgs_126_tpt_126_halfLds_dp_ip_CI_unitstride_sbrr_C2R_dirReg ; -- Begin function fft_rtc_back_len1890_factors_2_3_3_3_7_5_wgs_126_tpt_126_halfLds_dp_ip_CI_unitstride_sbrr_C2R_dirReg
	.globl	fft_rtc_back_len1890_factors_2_3_3_3_7_5_wgs_126_tpt_126_halfLds_dp_ip_CI_unitstride_sbrr_C2R_dirReg
	.p2align	8
	.type	fft_rtc_back_len1890_factors_2_3_3_3_7_5_wgs_126_tpt_126_halfLds_dp_ip_CI_unitstride_sbrr_C2R_dirReg,@function
fft_rtc_back_len1890_factors_2_3_3_3_7_5_wgs_126_tpt_126_halfLds_dp_ip_CI_unitstride_sbrr_C2R_dirReg: ; @fft_rtc_back_len1890_factors_2_3_3_3_7_5_wgs_126_tpt_126_halfLds_dp_ip_CI_unitstride_sbrr_C2R_dirReg
; %bb.0:
	s_load_dwordx2 s[12:13], s[4:5], 0x50
	s_load_dwordx4 s[8:11], s[4:5], 0x0
	s_load_dwordx2 s[2:3], s[4:5], 0x18
	v_mul_u32_u24_e32 v1, 0x209, v0
	v_add_u32_sdwa v5, s6, v1 dst_sel:DWORD dst_unused:UNUSED_PAD src0_sel:DWORD src1_sel:WORD_1
	v_mov_b32_e32 v3, 0
	s_waitcnt lgkmcnt(0)
	v_cmp_lt_u64_e64 s[0:1], s[10:11], 2
	v_mov_b32_e32 v1, 0
	v_mov_b32_e32 v6, v3
	s_and_b64 vcc, exec, s[0:1]
	v_mov_b32_e32 v2, 0
	s_cbranch_vccnz .LBB0_8
; %bb.1:
	s_load_dwordx2 s[0:1], s[4:5], 0x10
	s_add_u32 s6, s2, 8
	s_addc_u32 s7, s3, 0
	v_mov_b32_e32 v1, 0
	v_mov_b32_e32 v2, 0
	s_waitcnt lgkmcnt(0)
	s_add_u32 s14, s0, 8
	s_addc_u32 s15, s1, 0
	s_mov_b64 s[16:17], 1
.LBB0_2:                                ; =>This Inner Loop Header: Depth=1
	s_load_dwordx2 s[18:19], s[14:15], 0x0
                                        ; implicit-def: $vgpr7_vgpr8
	s_waitcnt lgkmcnt(0)
	v_or_b32_e32 v4, s19, v6
	v_cmp_ne_u64_e32 vcc, 0, v[3:4]
	s_and_saveexec_b64 s[0:1], vcc
	s_xor_b64 s[20:21], exec, s[0:1]
	s_cbranch_execz .LBB0_4
; %bb.3:                                ;   in Loop: Header=BB0_2 Depth=1
	v_cvt_f32_u32_e32 v4, s18
	v_cvt_f32_u32_e32 v7, s19
	s_sub_u32 s0, 0, s18
	s_subb_u32 s1, 0, s19
	v_mac_f32_e32 v4, 0x4f800000, v7
	v_rcp_f32_e32 v4, v4
	v_mul_f32_e32 v4, 0x5f7ffffc, v4
	v_mul_f32_e32 v7, 0x2f800000, v4
	v_trunc_f32_e32 v7, v7
	v_mac_f32_e32 v4, 0xcf800000, v7
	v_cvt_u32_f32_e32 v7, v7
	v_cvt_u32_f32_e32 v4, v4
	v_mul_lo_u32 v8, s0, v7
	v_mul_hi_u32 v9, s0, v4
	v_mul_lo_u32 v11, s1, v4
	v_mul_lo_u32 v10, s0, v4
	v_add_u32_e32 v8, v9, v8
	v_add_u32_e32 v8, v8, v11
	v_mul_hi_u32 v9, v4, v10
	v_mul_lo_u32 v11, v4, v8
	v_mul_hi_u32 v13, v4, v8
	v_mul_hi_u32 v12, v7, v10
	v_mul_lo_u32 v10, v7, v10
	v_mul_hi_u32 v14, v7, v8
	v_add_co_u32_e32 v9, vcc, v9, v11
	v_addc_co_u32_e32 v11, vcc, 0, v13, vcc
	v_mul_lo_u32 v8, v7, v8
	v_add_co_u32_e32 v9, vcc, v9, v10
	v_addc_co_u32_e32 v9, vcc, v11, v12, vcc
	v_addc_co_u32_e32 v10, vcc, 0, v14, vcc
	v_add_co_u32_e32 v8, vcc, v9, v8
	v_addc_co_u32_e32 v9, vcc, 0, v10, vcc
	v_add_co_u32_e32 v4, vcc, v4, v8
	v_addc_co_u32_e32 v7, vcc, v7, v9, vcc
	v_mul_lo_u32 v8, s0, v7
	v_mul_hi_u32 v9, s0, v4
	v_mul_lo_u32 v10, s1, v4
	v_mul_lo_u32 v11, s0, v4
	v_add_u32_e32 v8, v9, v8
	v_add_u32_e32 v8, v8, v10
	v_mul_lo_u32 v12, v4, v8
	v_mul_hi_u32 v13, v4, v11
	v_mul_hi_u32 v14, v4, v8
	;; [unrolled: 1-line block ×3, first 2 shown]
	v_mul_lo_u32 v11, v7, v11
	v_mul_hi_u32 v9, v7, v8
	v_add_co_u32_e32 v12, vcc, v13, v12
	v_addc_co_u32_e32 v13, vcc, 0, v14, vcc
	v_mul_lo_u32 v8, v7, v8
	v_add_co_u32_e32 v11, vcc, v12, v11
	v_addc_co_u32_e32 v10, vcc, v13, v10, vcc
	v_addc_co_u32_e32 v9, vcc, 0, v9, vcc
	v_add_co_u32_e32 v8, vcc, v10, v8
	v_addc_co_u32_e32 v9, vcc, 0, v9, vcc
	v_add_co_u32_e32 v4, vcc, v4, v8
	v_addc_co_u32_e32 v9, vcc, v7, v9, vcc
	v_mad_u64_u32 v[7:8], s[0:1], v5, v9, 0
	v_mul_hi_u32 v10, v5, v4
	v_add_co_u32_e32 v11, vcc, v10, v7
	v_addc_co_u32_e32 v12, vcc, 0, v8, vcc
	v_mad_u64_u32 v[7:8], s[0:1], v6, v4, 0
	v_mad_u64_u32 v[9:10], s[0:1], v6, v9, 0
	v_add_co_u32_e32 v4, vcc, v11, v7
	v_addc_co_u32_e32 v4, vcc, v12, v8, vcc
	v_addc_co_u32_e32 v7, vcc, 0, v10, vcc
	v_add_co_u32_e32 v4, vcc, v4, v9
	v_addc_co_u32_e32 v9, vcc, 0, v7, vcc
	v_mul_lo_u32 v10, s19, v4
	v_mul_lo_u32 v11, s18, v9
	v_mad_u64_u32 v[7:8], s[0:1], s18, v4, 0
	v_add3_u32 v8, v8, v11, v10
	v_sub_u32_e32 v10, v6, v8
	v_mov_b32_e32 v11, s19
	v_sub_co_u32_e32 v7, vcc, v5, v7
	v_subb_co_u32_e64 v10, s[0:1], v10, v11, vcc
	v_subrev_co_u32_e64 v11, s[0:1], s18, v7
	v_subbrev_co_u32_e64 v10, s[0:1], 0, v10, s[0:1]
	v_cmp_le_u32_e64 s[0:1], s19, v10
	v_cndmask_b32_e64 v12, 0, -1, s[0:1]
	v_cmp_le_u32_e64 s[0:1], s18, v11
	v_cndmask_b32_e64 v11, 0, -1, s[0:1]
	v_cmp_eq_u32_e64 s[0:1], s19, v10
	v_cndmask_b32_e64 v10, v12, v11, s[0:1]
	v_add_co_u32_e64 v11, s[0:1], 2, v4
	v_addc_co_u32_e64 v12, s[0:1], 0, v9, s[0:1]
	v_add_co_u32_e64 v13, s[0:1], 1, v4
	v_addc_co_u32_e64 v14, s[0:1], 0, v9, s[0:1]
	v_subb_co_u32_e32 v8, vcc, v6, v8, vcc
	v_cmp_ne_u32_e64 s[0:1], 0, v10
	v_cmp_le_u32_e32 vcc, s19, v8
	v_cndmask_b32_e64 v10, v14, v12, s[0:1]
	v_cndmask_b32_e64 v12, 0, -1, vcc
	v_cmp_le_u32_e32 vcc, s18, v7
	v_cndmask_b32_e64 v7, 0, -1, vcc
	v_cmp_eq_u32_e32 vcc, s19, v8
	v_cndmask_b32_e32 v7, v12, v7, vcc
	v_cmp_ne_u32_e32 vcc, 0, v7
	v_cndmask_b32_e64 v7, v13, v11, s[0:1]
	v_cndmask_b32_e32 v8, v9, v10, vcc
	v_cndmask_b32_e32 v7, v4, v7, vcc
.LBB0_4:                                ;   in Loop: Header=BB0_2 Depth=1
	s_andn2_saveexec_b64 s[0:1], s[20:21]
	s_cbranch_execz .LBB0_6
; %bb.5:                                ;   in Loop: Header=BB0_2 Depth=1
	v_cvt_f32_u32_e32 v4, s18
	s_sub_i32 s20, 0, s18
	v_rcp_iflag_f32_e32 v4, v4
	v_mul_f32_e32 v4, 0x4f7ffffe, v4
	v_cvt_u32_f32_e32 v4, v4
	v_mul_lo_u32 v7, s20, v4
	v_mul_hi_u32 v7, v4, v7
	v_add_u32_e32 v4, v4, v7
	v_mul_hi_u32 v4, v5, v4
	v_mul_lo_u32 v7, v4, s18
	v_add_u32_e32 v8, 1, v4
	v_sub_u32_e32 v7, v5, v7
	v_subrev_u32_e32 v9, s18, v7
	v_cmp_le_u32_e32 vcc, s18, v7
	v_cndmask_b32_e32 v7, v7, v9, vcc
	v_cndmask_b32_e32 v4, v4, v8, vcc
	v_add_u32_e32 v8, 1, v4
	v_cmp_le_u32_e32 vcc, s18, v7
	v_cndmask_b32_e32 v7, v4, v8, vcc
	v_mov_b32_e32 v8, v3
.LBB0_6:                                ;   in Loop: Header=BB0_2 Depth=1
	s_or_b64 exec, exec, s[0:1]
	v_mul_lo_u32 v4, v8, s18
	v_mul_lo_u32 v11, v7, s19
	v_mad_u64_u32 v[9:10], s[0:1], v7, s18, 0
	s_load_dwordx2 s[0:1], s[6:7], 0x0
	s_add_u32 s16, s16, 1
	v_add3_u32 v4, v10, v11, v4
	v_sub_co_u32_e32 v5, vcc, v5, v9
	v_subb_co_u32_e32 v4, vcc, v6, v4, vcc
	s_waitcnt lgkmcnt(0)
	v_mul_lo_u32 v4, s0, v4
	v_mul_lo_u32 v6, s1, v5
	v_mad_u64_u32 v[1:2], s[0:1], s0, v5, v[1:2]
	s_addc_u32 s17, s17, 0
	s_add_u32 s6, s6, 8
	v_add3_u32 v2, v6, v2, v4
	v_mov_b32_e32 v4, s10
	v_mov_b32_e32 v5, s11
	s_addc_u32 s7, s7, 0
	v_cmp_ge_u64_e32 vcc, s[16:17], v[4:5]
	s_add_u32 s14, s14, 8
	s_addc_u32 s15, s15, 0
	s_cbranch_vccnz .LBB0_9
; %bb.7:                                ;   in Loop: Header=BB0_2 Depth=1
	v_mov_b32_e32 v5, v7
	v_mov_b32_e32 v6, v8
	s_branch .LBB0_2
.LBB0_8:
	v_mov_b32_e32 v8, v6
	v_mov_b32_e32 v7, v5
.LBB0_9:
	s_lshl_b64 s[0:1], s[10:11], 3
	s_add_u32 s0, s2, s0
	s_addc_u32 s1, s3, s1
	s_load_dwordx2 s[2:3], s[0:1], 0x0
	s_load_dwordx2 s[6:7], s[4:5], 0x20
	s_waitcnt lgkmcnt(0)
	v_mad_u64_u32 v[1:2], s[0:1], s2, v7, v[1:2]
	v_mul_lo_u32 v3, s2, v8
	v_mul_lo_u32 v4, s3, v7
	s_mov_b32 s0, 0x2082083
	v_mul_hi_u32 v5, v0, s0
	v_cmp_gt_u64_e64 s[0:1], s[6:7], v[7:8]
	v_add3_u32 v2, v4, v2, v3
	v_lshlrev_b64 v[86:87], 4, v[1:2]
	v_mul_u32_u24_e32 v3, 0x7e, v5
	v_sub_u32_e32 v84, v0, v3
	s_and_saveexec_b64 s[2:3], s[0:1]
	s_cbranch_execz .LBB0_13
; %bb.10:
	v_mov_b32_e32 v85, 0
	v_mov_b32_e32 v0, s13
	v_add_co_u32_e32 v1, vcc, s12, v86
	v_lshlrev_b64 v[2:3], 4, v[84:85]
	v_addc_co_u32_e32 v0, vcc, v0, v87, vcc
	v_add_co_u32_e32 v42, vcc, v1, v2
	v_addc_co_u32_e32 v43, vcc, v0, v3, vcc
	s_movk_i32 s4, 0x1000
	v_add_co_u32_e32 v26, vcc, s4, v42
	s_movk_i32 s5, 0x2000
	v_addc_co_u32_e32 v27, vcc, 0, v43, vcc
	v_add_co_u32_e32 v34, vcc, s5, v42
	v_addc_co_u32_e32 v35, vcc, 0, v43, vcc
	s_movk_i32 s4, 0x3000
	v_add_co_u32_e32 v44, vcc, s4, v42
	s_movk_i32 s5, 0x4000
	v_addc_co_u32_e32 v45, vcc, 0, v43, vcc
	v_add_co_u32_e32 v62, vcc, s5, v42
	v_addc_co_u32_e32 v63, vcc, 0, v43, vcc
	s_movk_i32 s4, 0x5000
	v_add_co_u32_e32 v64, vcc, s4, v42
	v_addc_co_u32_e32 v65, vcc, 0, v43, vcc
	v_add_co_u32_e32 v66, vcc, 0x6000, v42
	global_load_dwordx4 v[2:5], v[42:43], off
	global_load_dwordx4 v[6:9], v[42:43], off offset:2016
	global_load_dwordx4 v[10:13], v[42:43], off offset:4032
	;; [unrolled: 1-line block ×5, first 2 shown]
	s_nop 0
	global_load_dwordx4 v[26:29], v[34:35], off offset:3904
	global_load_dwordx4 v[30:33], v[44:45], off offset:1824
	s_nop 0
	global_load_dwordx4 v[34:37], v[44:45], off offset:3840
	global_load_dwordx4 v[38:41], v[62:63], off offset:1760
	v_addc_co_u32_e32 v67, vcc, 0, v43, vcc
	global_load_dwordx4 v[42:45], v[62:63], off offset:3776
	global_load_dwordx4 v[46:49], v[64:65], off offset:1696
	;; [unrolled: 1-line block ×5, first 2 shown]
	s_movk_i32 s4, 0x7d
	v_lshl_add_u32 v62, v84, 4, 0
	v_cmp_eq_u32_e32 vcc, s4, v84
	s_waitcnt vmcnt(14)
	ds_write_b128 v62, v[2:5]
	s_waitcnt vmcnt(13)
	ds_write_b128 v62, v[6:9] offset:2016
	s_waitcnt vmcnt(12)
	ds_write_b128 v62, v[10:13] offset:4032
	;; [unrolled: 2-line block ×14, first 2 shown]
	s_and_saveexec_b64 s[4:5], vcc
	s_cbranch_execz .LBB0_12
; %bb.11:
	v_add_co_u32_e32 v1, vcc, 0x7000, v1
	v_addc_co_u32_e32 v2, vcc, 0, v0, vcc
	global_load_dwordx4 v[0:3], v[1:2], off offset:1568
	v_mov_b32_e32 v84, 0x7d
	s_waitcnt vmcnt(0)
	ds_write_b128 v85, v[0:3] offset:30240
.LBB0_12:
	s_or_b64 exec, exec, s[4:5]
.LBB0_13:
	s_or_b64 exec, exec, s[2:3]
	v_lshlrev_b32_e32 v10, 4, v84
	v_add_u32_e32 v88, 0, v10
	s_waitcnt lgkmcnt(0)
	s_barrier
	v_sub_u32_e32 v11, 0, v10
	ds_read_b64 v[6:7], v88
	ds_read_b64 v[8:9], v11 offset:30240
	s_add_u32 s4, s8, 0x7600
	s_addc_u32 s5, s9, 0
	v_cmp_ne_u32_e32 vcc, 0, v84
                                        ; implicit-def: $vgpr4_vgpr5
	s_waitcnt lgkmcnt(0)
	v_add_f64 v[0:1], v[6:7], v[8:9]
	v_add_f64 v[2:3], v[6:7], -v[8:9]
	s_and_saveexec_b64 s[2:3], vcc
	s_xor_b64 s[2:3], exec, s[2:3]
	s_cbranch_execz .LBB0_15
; %bb.14:
	v_mov_b32_e32 v85, 0
	v_lshlrev_b64 v[0:1], 4, v[84:85]
	v_mov_b32_e32 v2, s5
	v_add_co_u32_e32 v0, vcc, s4, v0
	v_addc_co_u32_e32 v1, vcc, v2, v1, vcc
	global_load_dwordx4 v[2:5], v[0:1], off
	ds_read_b64 v[0:1], v11 offset:30248
	ds_read_b64 v[12:13], v88 offset:8
	v_add_f64 v[14:15], v[6:7], v[8:9]
	v_add_f64 v[8:9], v[6:7], -v[8:9]
	s_waitcnt lgkmcnt(0)
	v_add_f64 v[16:17], v[0:1], v[12:13]
	v_add_f64 v[0:1], v[12:13], -v[0:1]
	s_waitcnt vmcnt(0)
	v_fma_f64 v[6:7], -v[8:9], v[4:5], v[14:15]
	v_fma_f64 v[12:13], v[16:17], v[4:5], -v[0:1]
	v_fma_f64 v[14:15], v[8:9], v[4:5], v[14:15]
	v_fma_f64 v[18:19], v[16:17], v[4:5], v[0:1]
	;; [unrolled: 1-line block ×4, first 2 shown]
	v_fma_f64 v[0:1], -v[16:17], v[2:3], v[14:15]
	v_fma_f64 v[2:3], v[8:9], v[2:3], v[18:19]
	ds_write_b128 v11, v[4:7] offset:30240
	v_mov_b32_e32 v4, v84
	v_mov_b32_e32 v5, v85
.LBB0_15:
	s_andn2_saveexec_b64 s[2:3], s[2:3]
	s_cbranch_execz .LBB0_17
; %bb.16:
	v_mov_b32_e32 v8, 0
	ds_read_b128 v[4:7], v8 offset:15120
	s_waitcnt lgkmcnt(0)
	v_add_f64 v[12:13], v[4:5], v[4:5]
	v_mul_f64 v[14:15], v[6:7], -2.0
	v_mov_b32_e32 v4, 0
	v_mov_b32_e32 v5, 0
	ds_write_b128 v8, v[12:15] offset:15120
.LBB0_17:
	s_or_b64 exec, exec, s[2:3]
	v_lshlrev_b64 v[4:5], 4, v[4:5]
	v_mov_b32_e32 v6, s5
	v_add_co_u32_e32 v4, vcc, s4, v4
	v_addc_co_u32_e32 v5, vcc, v6, v5, vcc
	global_load_dwordx4 v[6:9], v[4:5], off offset:2016
	global_load_dwordx4 v[12:15], v[4:5], off offset:4032
	s_movk_i32 s2, 0x1000
	v_add_co_u32_e32 v24, vcc, s2, v4
	ds_write_b128 v88, v[0:3]
	v_addc_co_u32_e32 v25, vcc, 0, v5, vcc
	ds_read_b128 v[0:3], v88 offset:2016
	ds_read_b128 v[16:19], v11 offset:28224
	global_load_dwordx4 v[20:23], v[24:25], off offset:1952
	s_movk_i32 s2, 0x2000
	s_waitcnt lgkmcnt(0)
	v_add_f64 v[26:27], v[0:1], v[16:17]
	v_add_f64 v[28:29], v[18:19], v[2:3]
	v_add_f64 v[30:31], v[0:1], -v[16:17]
	v_add_f64 v[0:1], v[2:3], -v[18:19]
	s_waitcnt vmcnt(2)
	v_fma_f64 v[2:3], v[30:31], v[8:9], v[26:27]
	v_fma_f64 v[16:17], v[28:29], v[8:9], v[0:1]
	v_fma_f64 v[18:19], -v[30:31], v[8:9], v[26:27]
	v_fma_f64 v[8:9], v[28:29], v[8:9], -v[0:1]
	v_fma_f64 v[0:1], -v[28:29], v[6:7], v[2:3]
	v_fma_f64 v[2:3], v[30:31], v[6:7], v[16:17]
	v_fma_f64 v[16:17], v[28:29], v[6:7], v[18:19]
	;; [unrolled: 1-line block ×3, first 2 shown]
	ds_write_b128 v88, v[0:3] offset:2016
	ds_write_b128 v11, v[16:19] offset:28224
	ds_read_b128 v[0:3], v88 offset:4032
	ds_read_b128 v[6:9], v11 offset:26208
	global_load_dwordx4 v[16:19], v[24:25], off offset:3968
	s_waitcnt lgkmcnt(0)
	v_add_f64 v[24:25], v[0:1], v[6:7]
	v_add_f64 v[26:27], v[8:9], v[2:3]
	v_add_f64 v[28:29], v[0:1], -v[6:7]
	v_add_f64 v[0:1], v[2:3], -v[8:9]
	s_waitcnt vmcnt(2)
	v_fma_f64 v[2:3], v[28:29], v[14:15], v[24:25]
	v_fma_f64 v[6:7], v[26:27], v[14:15], v[0:1]
	v_fma_f64 v[8:9], -v[28:29], v[14:15], v[24:25]
	v_fma_f64 v[14:15], v[26:27], v[14:15], -v[0:1]
	v_add_co_u32_e32 v24, vcc, s2, v4
	v_addc_co_u32_e32 v25, vcc, 0, v5, vcc
	v_fma_f64 v[0:1], -v[26:27], v[12:13], v[2:3]
	v_fma_f64 v[2:3], v[28:29], v[12:13], v[6:7]
	v_fma_f64 v[6:7], v[26:27], v[12:13], v[8:9]
	;; [unrolled: 1-line block ×3, first 2 shown]
	ds_write_b128 v88, v[0:3] offset:4032
	ds_write_b128 v11, v[6:9] offset:26208
	ds_read_b128 v[0:3], v88 offset:6048
	ds_read_b128 v[6:9], v11 offset:24192
	global_load_dwordx4 v[12:15], v[24:25], off offset:1888
	v_cmp_gt_u32_e32 vcc, 63, v84
	s_waitcnt lgkmcnt(0)
	v_add_f64 v[26:27], v[0:1], v[6:7]
	v_add_f64 v[28:29], v[8:9], v[2:3]
	v_add_f64 v[30:31], v[0:1], -v[6:7]
	v_add_f64 v[0:1], v[2:3], -v[8:9]
	s_waitcnt vmcnt(2)
	v_fma_f64 v[2:3], v[30:31], v[22:23], v[26:27]
	v_fma_f64 v[6:7], v[28:29], v[22:23], v[0:1]
	v_fma_f64 v[8:9], -v[30:31], v[22:23], v[26:27]
	v_fma_f64 v[22:23], v[28:29], v[22:23], -v[0:1]
	v_fma_f64 v[0:1], -v[28:29], v[20:21], v[2:3]
	v_fma_f64 v[2:3], v[30:31], v[20:21], v[6:7]
	v_fma_f64 v[6:7], v[28:29], v[20:21], v[8:9]
	;; [unrolled: 1-line block ×3, first 2 shown]
	ds_write_b128 v88, v[0:3] offset:6048
	ds_write_b128 v11, v[6:9] offset:24192
	ds_read_b128 v[0:3], v88 offset:8064
	ds_read_b128 v[6:9], v11 offset:22176
	global_load_dwordx4 v[20:23], v[24:25], off offset:3904
	s_waitcnt lgkmcnt(0)
	v_add_f64 v[24:25], v[0:1], v[6:7]
	v_add_f64 v[26:27], v[8:9], v[2:3]
	v_add_f64 v[28:29], v[0:1], -v[6:7]
	v_add_f64 v[0:1], v[2:3], -v[8:9]
	s_waitcnt vmcnt(2)
	v_fma_f64 v[2:3], v[28:29], v[18:19], v[24:25]
	v_fma_f64 v[6:7], v[26:27], v[18:19], v[0:1]
	v_fma_f64 v[8:9], -v[28:29], v[18:19], v[24:25]
	v_fma_f64 v[18:19], v[26:27], v[18:19], -v[0:1]
	v_fma_f64 v[0:1], -v[26:27], v[16:17], v[2:3]
	v_fma_f64 v[2:3], v[28:29], v[16:17], v[6:7]
	v_fma_f64 v[6:7], v[26:27], v[16:17], v[8:9]
	;; [unrolled: 1-line block ×3, first 2 shown]
	ds_write_b128 v88, v[0:3] offset:8064
	ds_write_b128 v11, v[6:9] offset:22176
	ds_read_b128 v[0:3], v88 offset:10080
	ds_read_b128 v[6:9], v11 offset:20160
	s_waitcnt lgkmcnt(0)
	v_add_f64 v[16:17], v[0:1], v[6:7]
	v_add_f64 v[18:19], v[8:9], v[2:3]
	v_add_f64 v[24:25], v[0:1], -v[6:7]
	v_add_f64 v[0:1], v[2:3], -v[8:9]
	s_waitcnt vmcnt(1)
	v_fma_f64 v[2:3], v[24:25], v[14:15], v[16:17]
	v_fma_f64 v[6:7], v[18:19], v[14:15], v[0:1]
	v_fma_f64 v[8:9], -v[24:25], v[14:15], v[16:17]
	v_fma_f64 v[14:15], v[18:19], v[14:15], -v[0:1]
	v_fma_f64 v[0:1], -v[18:19], v[12:13], v[2:3]
	v_fma_f64 v[2:3], v[24:25], v[12:13], v[6:7]
	v_fma_f64 v[6:7], v[18:19], v[12:13], v[8:9]
	;; [unrolled: 1-line block ×3, first 2 shown]
	ds_write_b128 v88, v[0:3] offset:10080
	ds_write_b128 v11, v[6:9] offset:20160
	ds_read_b128 v[0:3], v88 offset:12096
	ds_read_b128 v[6:9], v11 offset:18144
	s_waitcnt lgkmcnt(0)
	v_add_f64 v[12:13], v[0:1], v[6:7]
	v_add_f64 v[14:15], v[8:9], v[2:3]
	v_add_f64 v[16:17], v[0:1], -v[6:7]
	v_add_f64 v[0:1], v[2:3], -v[8:9]
	s_waitcnt vmcnt(0)
	v_fma_f64 v[2:3], v[16:17], v[22:23], v[12:13]
	v_fma_f64 v[6:7], v[14:15], v[22:23], v[0:1]
	v_fma_f64 v[8:9], -v[16:17], v[22:23], v[12:13]
	v_fma_f64 v[12:13], v[14:15], v[22:23], -v[0:1]
	v_fma_f64 v[0:1], -v[14:15], v[20:21], v[2:3]
	v_fma_f64 v[2:3], v[16:17], v[20:21], v[6:7]
	v_fma_f64 v[6:7], v[14:15], v[20:21], v[8:9]
	;; [unrolled: 1-line block ×3, first 2 shown]
	ds_write_b128 v88, v[0:3] offset:12096
	ds_write_b128 v11, v[6:9] offset:18144
	s_and_saveexec_b64 s[4:5], vcc
	s_cbranch_execz .LBB0_19
; %bb.18:
	s_movk_i32 s2, 0x3000
	v_add_co_u32_e64 v0, s[2:3], s2, v4
	v_addc_co_u32_e64 v1, s[2:3], 0, v5, s[2:3]
	global_load_dwordx4 v[0:3], v[0:1], off offset:1824
	ds_read_b128 v[4:7], v88 offset:14112
	ds_read_b128 v[12:15], v11 offset:16128
	s_waitcnt lgkmcnt(0)
	v_add_f64 v[8:9], v[4:5], v[12:13]
	v_add_f64 v[16:17], v[14:15], v[6:7]
	v_add_f64 v[12:13], v[4:5], -v[12:13]
	v_add_f64 v[4:5], v[6:7], -v[14:15]
	s_waitcnt vmcnt(0)
	v_fma_f64 v[6:7], v[12:13], v[2:3], v[8:9]
	v_fma_f64 v[14:15], v[16:17], v[2:3], v[4:5]
	v_fma_f64 v[8:9], -v[12:13], v[2:3], v[8:9]
	v_fma_f64 v[18:19], v[16:17], v[2:3], -v[4:5]
	v_fma_f64 v[2:3], -v[16:17], v[0:1], v[6:7]
	v_fma_f64 v[4:5], v[12:13], v[0:1], v[14:15]
	v_fma_f64 v[6:7], v[16:17], v[0:1], v[8:9]
	;; [unrolled: 1-line block ×3, first 2 shown]
	ds_write_b128 v88, v[2:5] offset:14112
	ds_write_b128 v11, v[6:9] offset:16128
.LBB0_19:
	s_or_b64 exec, exec, s[4:5]
	s_waitcnt lgkmcnt(0)
	s_barrier
	s_barrier
	ds_read_b128 v[0:3], v88 offset:17136
	ds_read_b128 v[4:7], v88 offset:2016
	ds_read_b128 v[11:14], v88
	ds_read_b128 v[15:18], v88 offset:15120
	v_add_u32_e32 v89, 0x7e, v84
	v_lshl_add_u32 v8, v89, 5, 0
	s_waitcnt lgkmcnt(2)
	v_add_f64 v[0:1], v[4:5], -v[0:1]
	v_add_f64 v[2:3], v[6:7], -v[2:3]
	v_add_u32_e32 v85, 0xfc, v84
	v_add_u32_e32 v9, 0x17a, v84
	s_waitcnt lgkmcnt(0)
	v_add_f64 v[15:16], v[11:12], -v[15:16]
	v_add_f64 v[17:18], v[13:14], -v[17:18]
	v_add_u32_e32 v10, v88, v10
	v_fma_f64 v[19:20], v[4:5], 2.0, -v[0:1]
	v_fma_f64 v[21:22], v[6:7], 2.0, -v[2:3]
	ds_read_b128 v[23:26], v88 offset:4032
	ds_read_b128 v[27:30], v88 offset:6048
	;; [unrolled: 1-line block ×12, first 2 shown]
	s_waitcnt lgkmcnt(9)
	v_add_f64 v[31:32], v[23:24], -v[31:32]
	v_add_f64 v[33:34], v[25:26], -v[33:34]
	s_waitcnt lgkmcnt(8)
	v_add_f64 v[35:36], v[27:28], -v[35:36]
	v_add_f64 v[37:38], v[29:30], -v[37:38]
	s_waitcnt lgkmcnt(0)
	s_barrier
	ds_write_b128 v8, v[19:22]
	v_fma_f64 v[19:20], v[23:24], 2.0, -v[31:32]
	v_fma_f64 v[21:22], v[25:26], 2.0, -v[33:34]
	ds_write_b128 v8, v[0:3] offset:16
	v_fma_f64 v[0:1], v[27:28], 2.0, -v[35:36]
	v_fma_f64 v[2:3], v[29:30], 2.0, -v[37:38]
	v_add_f64 v[23:24], v[39:40], -v[47:48]
	v_add_f64 v[25:26], v[41:42], -v[49:50]
	v_lshl_add_u32 v8, v85, 5, 0
	ds_write_b128 v8, v[19:22]
	ds_write_b128 v8, v[31:34] offset:16
	v_lshl_add_u32 v8, v9, 5, 0
	ds_write_b128 v8, v[0:3]
	ds_write_b128 v8, v[35:38] offset:16
	v_fma_f64 v[0:1], v[39:40], 2.0, -v[23:24]
	v_fma_f64 v[2:3], v[41:42], 2.0, -v[25:26]
	v_add_f64 v[19:20], v[43:44], -v[51:52]
	v_add_f64 v[21:22], v[45:46], -v[53:54]
	;; [unrolled: 1-line block ×4, first 2 shown]
	v_add_u32_e32 v8, 0x1f8, v84
	v_lshl_add_u32 v31, v8, 5, 0
	v_fma_f64 v[11:12], v[11:12], 2.0, -v[15:16]
	v_fma_f64 v[13:14], v[13:14], 2.0, -v[17:18]
	ds_write_b128 v31, v[0:3]
	ds_write_b128 v31, v[23:26] offset:16
	v_fma_f64 v[23:24], v[43:44], 2.0, -v[19:20]
	v_fma_f64 v[25:26], v[45:46], 2.0, -v[21:22]
	v_add_f64 v[0:1], v[4:5], -v[63:64]
	v_add_f64 v[2:3], v[6:7], -v[65:66]
	v_fma_f64 v[31:32], v[55:56], 2.0, -v[27:28]
	v_fma_f64 v[33:34], v[57:58], 2.0, -v[29:30]
	ds_write_b128 v10, v[11:14]
	ds_write_b128 v10, v[15:18] offset:16
	v_lshl_add_u32 v11, v84, 5, 0
	ds_write_b128 v11, v[23:26] offset:20160
	ds_write_b128 v11, v[19:22] offset:20176
	;; [unrolled: 1-line block ×4, first 2 shown]
	s_and_saveexec_b64 s[2:3], vcc
	s_cbranch_execz .LBB0_21
; %bb.20:
	v_fma_f64 v[6:7], v[6:7], 2.0, -v[2:3]
	v_fma_f64 v[4:5], v[4:5], 2.0, -v[0:1]
	ds_write_b128 v10, v[4:7] offset:28224
	ds_write_b128 v10, v[0:3] offset:28240
.LBB0_21:
	s_or_b64 exec, exec, s[2:3]
	v_and_b32_e32 v4, 1, v84
	v_lshlrev_b32_e32 v5, 5, v4
	s_waitcnt lgkmcnt(0)
	s_barrier
	global_load_dwordx4 v[10:13], v5, s[8:9]
	global_load_dwordx4 v[14:17], v5, s[8:9] offset:16
	ds_read_b128 v[18:21], v88
	ds_read_b128 v[22:25], v88 offset:2016
	ds_read_b128 v[26:29], v88 offset:20160
	;; [unrolled: 1-line block ×13, first 2 shown]
	s_mov_b32 s2, 0xe8584caa
	s_mov_b32 s3, 0xbfebb67a
	;; [unrolled: 1-line block ×4, first 2 shown]
	ds_read_b128 v[74:77], v88 offset:8064
	s_waitcnt vmcnt(0) lgkmcnt(0)
	s_barrier
	s_movk_i32 s6, 0xab
	v_cmp_gt_u32_e32 vcc, 18, v84
	v_mul_f64 v[5:6], v[72:73], v[12:13]
	v_mul_f64 v[78:79], v[70:71], v[12:13]
	;; [unrolled: 1-line block ×17, first 2 shown]
	v_fma_f64 v[5:6], v[70:71], v[10:11], v[5:6]
	v_fma_f64 v[70:71], v[72:73], v[10:11], -v[78:79]
	v_fma_f64 v[78:79], v[48:49], v[10:11], -v[12:13]
	;; [unrolled: 1-line block ×3, first 2 shown]
	v_mul_f64 v[112:113], v[56:57], v[16:17]
	v_mul_f64 v[116:117], v[60:61], v[16:17]
	;; [unrolled: 1-line block ×3, first 2 shown]
	v_fma_f64 v[34:35], v[34:35], v[10:11], v[80:81]
	v_fma_f64 v[36:37], v[36:37], v[10:11], -v[82:83]
	v_fma_f64 v[38:39], v[38:39], v[10:11], v[90:91]
	v_fma_f64 v[40:41], v[40:41], v[10:11], -v[92:93]
	v_fma_f64 v[42:43], v[42:43], v[10:11], v[94:95]
	v_fma_f64 v[44:45], v[44:45], v[10:11], -v[96:97]
	v_fma_f64 v[72:73], v[46:47], v[10:11], v[98:99]
	v_fma_f64 v[10:11], v[26:27], v[14:15], v[100:101]
	;; [unrolled: 1-line block ×3, first 2 shown]
	v_fma_f64 v[28:29], v[32:33], v[14:15], -v[106:107]
	v_fma_f64 v[30:31], v[50:51], v[14:15], v[108:109]
	v_fma_f64 v[32:33], v[52:53], v[14:15], -v[110:111]
	v_fma_f64 v[48:49], v[56:57], v[14:15], -v[114:115]
	v_add_f64 v[52:53], v[70:71], v[12:13]
	v_fma_f64 v[46:47], v[54:55], v[14:15], v[112:113]
	v_fma_f64 v[58:59], v[58:59], v[14:15], v[116:117]
	v_fma_f64 v[60:61], v[60:61], v[14:15], -v[16:17]
	v_add_f64 v[14:15], v[18:19], v[5:6]
	v_add_f64 v[16:17], v[20:21], v[70:71]
	;; [unrolled: 1-line block ×3, first 2 shown]
	v_add_f64 v[54:55], v[70:71], -v[12:13]
	v_add_f64 v[5:6], v[5:6], -v[10:11]
	v_add_f64 v[56:57], v[22:23], v[34:35]
	v_add_f64 v[70:71], v[24:25], v[36:37]
	;; [unrolled: 1-line block ×6, first 2 shown]
	v_add_f64 v[104:105], v[44:45], -v[48:49]
	v_add_f64 v[106:107], v[68:69], v[44:45]
	v_fma_f64 v[44:45], v[52:53], -0.5, v[20:21]
	v_add_f64 v[80:81], v[34:35], v[26:27]
	v_add_f64 v[36:37], v[36:37], -v[28:29]
	v_add_f64 v[90:91], v[34:35], -v[26:27]
	v_add_f64 v[34:35], v[62:63], v[38:39]
	v_add_f64 v[92:93], v[64:65], v[40:41]
	v_add_f64 v[40:41], v[40:41], -v[32:33]
	v_add_f64 v[98:99], v[38:39], -v[30:31]
	v_add_f64 v[38:39], v[42:43], v[46:47]
	v_add_f64 v[102:103], v[66:67], v[42:43]
	v_add_f64 v[108:109], v[42:43], -v[46:47]
	v_add_f64 v[110:111], v[72:73], v[58:59]
	v_add_f64 v[10:11], v[14:15], v[10:11]
	;; [unrolled: 1-line block ×3, first 2 shown]
	v_fma_f64 v[42:43], v[50:51], -0.5, v[18:19]
	v_add_f64 v[14:15], v[56:57], v[26:27]
	v_add_f64 v[16:17], v[70:71], v[28:29]
	v_fma_f64 v[52:53], v[82:83], -0.5, v[24:25]
	v_fma_f64 v[56:57], v[94:95], -0.5, v[62:63]
	;; [unrolled: 1-line block ×3, first 2 shown]
	v_fma_f64 v[24:25], v[5:6], s[4:5], v[44:45]
	v_fma_f64 v[28:29], v[5:6], s[2:3], v[44:45]
	v_add_f64 v[5:6], v[78:79], v[60:61]
	v_fma_f64 v[50:51], v[80:81], -0.5, v[22:23]
	v_fma_f64 v[64:65], v[38:39], -0.5, v[66:67]
	;; [unrolled: 1-line block ×3, first 2 shown]
	v_fma_f64 v[22:23], v[54:55], s[2:3], v[42:43]
	v_fma_f64 v[26:27], v[54:55], s[4:5], v[42:43]
	v_fma_f64 v[38:39], v[40:41], s[2:3], v[56:57]
	v_fma_f64 v[42:43], v[40:41], s[4:5], v[56:57]
	v_fma_f64 v[40:41], v[98:99], s[4:5], v[62:63]
	v_fma_f64 v[44:45], v[98:99], s[2:3], v[62:63]
	v_fma_f64 v[68:69], v[110:111], -0.5, v[74:75]
	v_add_f64 v[62:63], v[74:75], v[72:73]
	v_add_f64 v[74:75], v[78:79], -v[60:61]
	v_fma_f64 v[5:6], v[5:6], -0.5, v[76:77]
	v_add_f64 v[72:73], v[72:73], -v[58:59]
	v_add_f64 v[18:19], v[34:35], v[30:31]
	v_add_f64 v[20:21], v[92:93], v[32:33]
	v_fma_f64 v[30:31], v[36:37], s[2:3], v[50:51]
	v_fma_f64 v[34:35], v[36:37], s[4:5], v[50:51]
	;; [unrolled: 1-line block ×8, first 2 shown]
	v_add_f64 v[58:59], v[62:63], v[58:59]
	v_fma_f64 v[62:63], v[74:75], s[2:3], v[68:69]
	v_fma_f64 v[66:67], v[74:75], s[4:5], v[68:69]
	;; [unrolled: 1-line block ×4, first 2 shown]
	v_lshrrev_b32_e32 v5, 1, v84
	v_mul_u32_u24_e32 v5, 6, v5
	v_or_b32_e32 v5, v5, v4
	v_lshl_add_u32 v5, v5, 4, 0
	v_add_f64 v[70:71], v[76:77], v[78:79]
	ds_write_b128 v5, v[10:13]
	ds_write_b128 v5, v[22:25] offset:32
	ds_write_b128 v5, v[26:29] offset:64
	v_lshrrev_b32_e32 v5, 1, v89
	v_mul_u32_u24_e32 v5, 6, v5
	v_or_b32_e32 v5, v5, v4
	v_lshl_add_u32 v5, v5, 4, 0
	v_add_f64 v[46:47], v[102:103], v[46:47]
	v_add_f64 v[48:49], v[106:107], v[48:49]
	ds_write_b128 v5, v[14:17]
	ds_write_b128 v5, v[30:33] offset:32
	ds_write_b128 v5, v[34:37] offset:64
	v_lshrrev_b32_e32 v5, 1, v85
	v_mul_u32_u24_e32 v5, 6, v5
	v_or_b32_e32 v5, v5, v4
	v_lshl_add_u32 v5, v5, 4, 0
	v_add_f64 v[60:61], v[70:71], v[60:61]
	ds_write_b128 v5, v[18:21]
	ds_write_b128 v5, v[38:41] offset:32
	ds_write_b128 v5, v[42:45] offset:64
	v_lshrrev_b32_e32 v5, 1, v9
	v_mul_u32_u24_e32 v5, 6, v5
	v_or_b32_e32 v5, v5, v4
	v_lshl_add_u32 v5, v5, 4, 0
	ds_write_b128 v5, v[46:49]
	ds_write_b128 v5, v[50:53] offset:32
	ds_write_b128 v5, v[54:57] offset:64
	v_lshrrev_b32_e32 v5, 1, v8
	v_mul_u32_u24_e32 v5, 6, v5
	v_or_b32_e32 v4, v5, v4
	v_lshl_add_u32 v4, v4, 4, 0
	ds_write_b128 v4, v[58:61]
	ds_write_b128 v4, v[62:65] offset:32
	ds_write_b128 v4, v[66:69] offset:64
	v_mul_lo_u16_sdwa v4, v84, s6 dst_sel:DWORD dst_unused:UNUSED_PAD src0_sel:BYTE_0 src1_sel:DWORD
	v_lshrrev_b16_e32 v5, 10, v4
	v_mul_lo_u16_e32 v4, 6, v5
	v_sub_u16_e32 v6, v84, v4
	v_mov_b32_e32 v4, 5
	v_lshlrev_b32_sdwa v7, v4, v6 dst_sel:DWORD dst_unused:UNUSED_PAD src0_sel:DWORD src1_sel:BYTE_0
	s_waitcnt lgkmcnt(0)
	s_barrier
	global_load_dwordx4 v[11:14], v7, s[8:9] offset:64
	global_load_dwordx4 v[15:18], v7, s[8:9] offset:80
	v_mul_lo_u16_sdwa v7, v89, s6 dst_sel:DWORD dst_unused:UNUSED_PAD src0_sel:BYTE_0 src1_sel:DWORD
	v_lshrrev_b16_e32 v7, 10, v7
	v_mul_lo_u16_e32 v10, 6, v7
	v_sub_u16_e32 v10, v89, v10
	v_lshlrev_b32_sdwa v27, v4, v10 dst_sel:DWORD dst_unused:UNUSED_PAD src0_sel:DWORD src1_sel:BYTE_0
	s_mov_b32 s6, 0xaaab
	global_load_dwordx4 v[19:22], v27, s[8:9] offset:64
	global_load_dwordx4 v[23:26], v27, s[8:9] offset:80
	v_mul_u32_u24_sdwa v27, v85, s6 dst_sel:DWORD dst_unused:UNUSED_PAD src0_sel:WORD_0 src1_sel:DWORD
	v_lshrrev_b32_e32 v83, 18, v27
	v_mul_lo_u16_e32 v27, 6, v83
	v_sub_u16_e32 v98, v85, v27
	v_lshlrev_b32_e32 v35, 5, v98
	global_load_dwordx4 v[27:30], v35, s[8:9] offset:64
	global_load_dwordx4 v[31:34], v35, s[8:9] offset:80
	v_mul_u32_u24_sdwa v35, v9, s6 dst_sel:DWORD dst_unused:UNUSED_PAD src0_sel:WORD_0 src1_sel:DWORD
	v_lshrrev_b32_e32 v99, 18, v35
	v_mul_lo_u16_e32 v35, 6, v99
	v_sub_u16_e32 v100, v9, v35
	v_lshlrev_b32_e32 v43, 5, v100
	;; [unrolled: 7-line block ×3, first 2 shown]
	global_load_dwordx4 v[43:46], v51, s[8:9] offset:64
	global_load_dwordx4 v[47:50], v51, s[8:9] offset:80
	ds_read_b128 v[51:54], v88 offset:10080
	ds_read_b128 v[55:58], v88 offset:8064
	;; [unrolled: 1-line block ×5, first 2 shown]
	v_mul_u32_u24_e32 v5, 0x120, v5
	s_mov_b32 s6, 0xe38f
	s_waitcnt vmcnt(9) lgkmcnt(4)
	v_mul_f64 v[71:72], v[53:54], v[13:14]
	v_mul_f64 v[13:14], v[51:52], v[13:14]
	s_waitcnt vmcnt(8) lgkmcnt(2)
	v_mul_f64 v[73:74], v[61:62], v[17:18]
	v_mul_f64 v[17:18], v[59:60], v[17:18]
	v_fma_f64 v[71:72], v[51:52], v[11:12], v[71:72]
	v_fma_f64 v[75:76], v[53:54], v[11:12], -v[13:14]
	ds_read_b128 v[11:14], v88 offset:14112
	v_fma_f64 v[59:60], v[59:60], v[15:16], v[73:74]
	v_fma_f64 v[61:62], v[61:62], v[15:16], -v[17:18]
	ds_read_b128 v[15:18], v88 offset:24192
	s_waitcnt vmcnt(6) lgkmcnt(3)
	v_mul_f64 v[73:74], v[65:66], v[25:26]
	v_mul_f64 v[25:26], v[63:64], v[25:26]
	s_waitcnt lgkmcnt(2)
	v_mul_f64 v[51:52], v[69:70], v[21:22]
	v_mul_f64 v[21:22], v[67:68], v[21:22]
	s_waitcnt vmcnt(5) lgkmcnt(1)
	v_mul_f64 v[77:78], v[13:14], v[29:30]
	v_mul_f64 v[29:30], v[11:12], v[29:30]
	s_waitcnt vmcnt(4) lgkmcnt(0)
	v_mul_f64 v[79:80], v[17:18], v[33:34]
	v_fma_f64 v[63:64], v[63:64], v[23:24], v[73:74]
	v_fma_f64 v[65:66], v[65:66], v[23:24], -v[25:26]
	v_mul_f64 v[23:24], v[15:16], v[33:34]
	v_fma_f64 v[67:68], v[67:68], v[19:20], v[51:52]
	v_fma_f64 v[69:70], v[69:70], v[19:20], -v[21:22]
	v_fma_f64 v[73:74], v[11:12], v[27:28], v[77:78]
	ds_read_b128 v[19:22], v88 offset:16128
	v_fma_f64 v[33:34], v[13:14], v[27:28], -v[29:30]
	ds_read_b128 v[11:14], v88 offset:18144
	v_fma_f64 v[77:78], v[15:16], v[31:32], v[79:80]
	v_fma_f64 v[79:80], v[17:18], v[31:32], -v[23:24]
	ds_read_b128 v[51:54], v88 offset:26208
	ds_read_b128 v[15:18], v88 offset:28224
	s_waitcnt vmcnt(1) lgkmcnt(2)
	v_mul_f64 v[23:24], v[13:14], v[45:46]
	v_mul_f64 v[31:32], v[11:12], v[45:46]
	;; [unrolled: 1-line block ×4, first 2 shown]
	s_waitcnt lgkmcnt(1)
	v_mul_f64 v[29:30], v[53:54], v[41:42]
	v_mul_f64 v[37:38], v[51:52], v[41:42]
	v_fma_f64 v[92:93], v[11:12], v[43:44], v[23:24]
	v_fma_f64 v[94:95], v[13:14], v[43:44], -v[31:32]
	ds_read_b128 v[11:14], v88
	v_fma_f64 v[81:82], v[19:20], v[35:36], v[25:26]
	v_fma_f64 v[90:91], v[21:22], v[35:36], -v[27:28]
	ds_read_b128 v[19:22], v88 offset:2016
	v_add_f64 v[23:24], v[71:72], v[59:60]
	s_waitcnt lgkmcnt(1)
	v_add_f64 v[31:32], v[11:12], v[71:72]
	v_fma_f64 v[51:52], v[51:52], v[39:40], v[29:30]
	s_waitcnt vmcnt(0)
	v_mul_f64 v[25:26], v[17:18], v[49:50]
	v_mul_f64 v[27:28], v[15:16], v[49:50]
	v_add_f64 v[29:30], v[75:76], v[61:62]
	v_fma_f64 v[53:54], v[53:54], v[39:40], -v[37:38]
	s_waitcnt lgkmcnt(0)
	v_add_f64 v[37:38], v[19:20], v[67:68]
	v_fma_f64 v[23:24], v[23:24], -0.5, v[11:12]
	v_add_f64 v[11:12], v[31:32], v[59:60]
	v_add_f64 v[31:32], v[67:68], v[63:64]
	v_fma_f64 v[96:97], v[15:16], v[47:48], v[25:26]
	v_add_f64 v[15:16], v[13:14], v[75:76]
	v_add_f64 v[25:26], v[75:76], -v[61:62]
	v_fma_f64 v[75:76], v[17:18], v[47:48], -v[27:28]
	v_fma_f64 v[27:28], v[29:30], -0.5, v[13:14]
	v_add_f64 v[29:30], v[71:72], -v[59:60]
	v_add_f64 v[35:36], v[69:70], v[65:66]
	v_add_f64 v[39:40], v[21:22], v[69:70]
	v_fma_f64 v[41:42], v[31:32], -0.5, v[19:20]
	v_add_f64 v[43:44], v[69:70], -v[65:66]
	v_add_f64 v[19:20], v[37:38], v[63:64]
	v_add_f64 v[37:38], v[73:74], v[77:78]
	v_add_f64 v[13:14], v[15:16], v[61:62]
	v_fma_f64 v[15:16], v[25:26], s[2:3], v[23:24]
	v_fma_f64 v[23:24], v[25:26], s[4:5], v[23:24]
	;; [unrolled: 1-line block ×4, first 2 shown]
	ds_read_b128 v[27:30], v88 offset:4032
	v_fma_f64 v[45:46], v[35:36], -0.5, v[21:22]
	v_add_f64 v[47:48], v[67:68], -v[63:64]
	v_add_f64 v[21:22], v[39:40], v[65:66]
	v_fma_f64 v[31:32], v[43:44], s[2:3], v[41:42]
	v_fma_f64 v[35:36], v[43:44], s[4:5], v[41:42]
	ds_read_b128 v[39:42], v88 offset:6048
	v_add_f64 v[43:44], v[33:34], v[79:80]
	s_waitcnt lgkmcnt(1)
	v_fma_f64 v[59:60], v[37:38], -0.5, v[27:28]
	v_add_f64 v[61:62], v[33:34], -v[79:80]
	v_add_f64 v[49:50], v[29:30], v[33:34]
	v_fma_f64 v[33:34], v[47:48], s[4:5], v[45:46]
	v_fma_f64 v[37:38], v[47:48], s[2:3], v[45:46]
	v_add_f64 v[65:66], v[73:74], -v[77:78]
	s_waitcnt lgkmcnt(0)
	v_add_f64 v[67:68], v[39:40], v[81:82]
	v_fma_f64 v[63:64], v[43:44], -0.5, v[29:30]
	v_add_f64 v[27:28], v[27:28], v[73:74]
	v_fma_f64 v[43:44], v[61:62], s[2:3], v[59:60]
	v_fma_f64 v[47:48], v[61:62], s[4:5], v[59:60]
	v_add_f64 v[59:60], v[90:91], v[53:54]
	v_add_f64 v[61:62], v[41:42], v[90:91]
	;; [unrolled: 1-line block ×4, first 2 shown]
	v_add_f64 v[71:72], v[90:91], -v[53:54]
	v_add_f64 v[73:74], v[92:93], v[96:97]
	v_fma_f64 v[45:46], v[65:66], s[4:5], v[63:64]
	v_add_f64 v[27:28], v[27:28], v[77:78]
	v_fma_f64 v[59:60], v[59:60], -0.5, v[41:42]
	v_add_f64 v[41:42], v[61:62], v[53:54]
	v_add_f64 v[53:54], v[94:95], v[75:76]
	v_fma_f64 v[69:70], v[49:50], -0.5, v[39:40]
	v_add_f64 v[61:62], v[81:82], -v[51:52]
	v_fma_f64 v[49:50], v[65:66], s[2:3], v[63:64]
	v_add_f64 v[39:40], v[67:68], v[51:52]
	v_add_f64 v[63:64], v[57:58], v[94:95]
	v_add_f64 v[67:68], v[55:56], v[92:93]
	v_fma_f64 v[65:66], v[73:74], -0.5, v[55:56]
	v_add_f64 v[73:74], v[94:95], -v[75:76]
	v_fma_f64 v[77:78], v[53:54], -0.5, v[57:58]
	v_add_f64 v[79:80], v[92:93], -v[96:97]
	v_mov_b32_e32 v90, 4
	v_lshlrev_b32_sdwa v6, v90, v6 dst_sel:DWORD dst_unused:UNUSED_PAD src0_sel:DWORD src1_sel:BYTE_0
	v_fma_f64 v[51:52], v[71:72], s[2:3], v[69:70]
	v_fma_f64 v[53:54], v[61:62], s[4:5], v[59:60]
	v_add3_u32 v5, 0, v5, v6
	v_fma_f64 v[55:56], v[71:72], s[4:5], v[69:70]
	v_fma_f64 v[57:58], v[61:62], s[2:3], v[59:60]
	v_add_f64 v[61:62], v[63:64], v[75:76]
	v_add_f64 v[59:60], v[67:68], v[96:97]
	s_barrier
	ds_write_b128 v5, v[11:14]
	ds_write_b128 v5, v[15:18] offset:96
	ds_write_b128 v5, v[23:26] offset:192
	v_mul_u32_u24_e32 v5, 0x120, v7
	v_lshlrev_b32_sdwa v6, v90, v10 dst_sel:DWORD dst_unused:UNUSED_PAD src0_sel:DWORD src1_sel:BYTE_0
	v_fma_f64 v[63:64], v[73:74], s[2:3], v[65:66]
	v_fma_f64 v[67:68], v[73:74], s[4:5], v[65:66]
	;; [unrolled: 1-line block ×3, first 2 shown]
	v_add3_u32 v5, 0, v5, v6
	v_fma_f64 v[69:70], v[79:80], s[2:3], v[77:78]
	ds_write_b128 v5, v[19:22]
	ds_write_b128 v5, v[31:34] offset:96
	ds_write_b128 v5, v[35:38] offset:192
	v_mul_u32_u24_e32 v5, 0x120, v83
	v_lshlrev_b32_e32 v6, 4, v98
	v_add3_u32 v5, 0, v5, v6
	ds_write_b128 v5, v[27:30]
	ds_write_b128 v5, v[43:46] offset:96
	ds_write_b128 v5, v[47:50] offset:192
	v_mul_u32_u24_e32 v5, 0x120, v99
	v_lshlrev_b32_e32 v6, 4, v100
	v_add3_u32 v5, 0, v5, v6
	;; [unrolled: 6-line block ×3, first 2 shown]
	ds_write_b128 v5, v[59:62]
	ds_write_b128 v5, v[63:66] offset:96
	ds_write_b128 v5, v[67:70] offset:192
	v_mov_b32_e32 v5, 57
	v_mul_lo_u16_sdwa v6, v84, v5 dst_sel:DWORD dst_unused:UNUSED_PAD src0_sel:BYTE_0 src1_sel:DWORD
	v_lshrrev_b16_e32 v10, 10, v6
	v_mul_lo_u16_e32 v6, 18, v10
	v_sub_u16_e32 v11, v84, v6
	v_lshlrev_b32_sdwa v6, v4, v11 dst_sel:DWORD dst_unused:UNUSED_PAD src0_sel:DWORD src1_sel:BYTE_0
	s_waitcnt lgkmcnt(0)
	s_barrier
	global_load_dwordx4 v[16:19], v6, s[8:9] offset:256
	global_load_dwordx4 v[20:23], v6, s[8:9] offset:272
	v_mul_lo_u16_sdwa v5, v89, v5 dst_sel:DWORD dst_unused:UNUSED_PAD src0_sel:BYTE_0 src1_sel:DWORD
	v_lshrrev_b16_e32 v12, 10, v5
	v_mul_lo_u16_e32 v5, 18, v12
	v_sub_u16_e32 v13, v89, v5
	v_lshlrev_b32_sdwa v14, v4, v13 dst_sel:DWORD dst_unused:UNUSED_PAD src0_sel:DWORD src1_sel:BYTE_0
	global_load_dwordx4 v[4:7], v14, s[8:9] offset:256
	global_load_dwordx4 v[24:27], v14, s[8:9] offset:272
	v_mul_u32_u24_sdwa v14, v85, s6 dst_sel:DWORD dst_unused:UNUSED_PAD src0_sel:WORD_0 src1_sel:DWORD
	v_lshrrev_b32_e32 v14, 20, v14
	v_mul_lo_u16_e32 v15, 18, v14
	v_sub_u16_e32 v15, v85, v15
	v_lshlrev_b32_e32 v36, 5, v15
	global_load_dwordx4 v[28:31], v36, s[8:9] offset:256
	global_load_dwordx4 v[32:35], v36, s[8:9] offset:272
	v_mul_u32_u24_sdwa v36, v9, s6 dst_sel:DWORD dst_unused:UNUSED_PAD src0_sel:WORD_0 src1_sel:DWORD
	v_lshrrev_b32_e32 v99, 20, v36
	v_mul_lo_u16_e32 v36, 18, v99
	v_sub_u16_e32 v100, v9, v36
	v_lshlrev_b32_e32 v9, 5, v100
	;; [unrolled: 7-line block ×3, first 2 shown]
	global_load_dwordx4 v[44:47], v8, s[8:9] offset:256
	global_load_dwordx4 v[48:51], v8, s[8:9] offset:272
	ds_read_b128 v[52:55], v88 offset:10080
	ds_read_b128 v[56:59], v88 offset:20160
	;; [unrolled: 1-line block ×6, first 2 shown]
	s_waitcnt vmcnt(9) lgkmcnt(5)
	v_mul_f64 v[8:9], v[54:55], v[18:19]
	s_waitcnt vmcnt(8) lgkmcnt(4)
	v_mul_f64 v[76:77], v[58:59], v[22:23]
	v_mul_f64 v[22:23], v[56:57], v[22:23]
	;; [unrolled: 1-line block ×3, first 2 shown]
	s_waitcnt vmcnt(7) lgkmcnt(2)
	v_mul_f64 v[78:79], v[70:71], v[6:7]
	v_fma_f64 v[52:53], v[52:53], v[16:17], v[8:9]
	v_fma_f64 v[56:57], v[56:57], v[20:21], v[76:77]
	v_fma_f64 v[58:59], v[58:59], v[20:21], -v[22:23]
	v_mul_f64 v[20:21], v[68:69], v[6:7]
	ds_read_b128 v[6:9], v88 offset:24192
	s_waitcnt vmcnt(6) lgkmcnt(1)
	v_mul_f64 v[22:23], v[66:67], v[26:27]
	v_mul_f64 v[26:27], v[64:65], v[26:27]
	v_fma_f64 v[68:69], v[68:69], v[4:5], v[78:79]
	s_waitcnt vmcnt(5)
	v_mul_f64 v[76:77], v[74:75], v[30:31]
	v_mul_f64 v[30:31], v[72:73], v[30:31]
	s_waitcnt vmcnt(4) lgkmcnt(0)
	v_mul_f64 v[78:79], v[8:9], v[34:35]
	v_fma_f64 v[70:71], v[70:71], v[4:5], -v[20:21]
	v_fma_f64 v[54:55], v[54:55], v[16:17], -v[18:19]
	v_fma_f64 v[64:65], v[64:65], v[24:25], v[22:23]
	v_fma_f64 v[66:67], v[66:67], v[24:25], -v[26:27]
	v_mul_f64 v[24:25], v[6:7], v[34:35]
	ds_read_b128 v[20:23], v88 offset:16128
	ds_read_b128 v[16:19], v88 offset:26208
	v_fma_f64 v[72:73], v[72:73], v[28:29], v[76:77]
	v_fma_f64 v[34:35], v[74:75], v[28:29], -v[30:31]
	v_fma_f64 v[74:75], v[6:7], v[32:33], v[78:79]
	ds_read_b128 v[4:7], v88 offset:18144
	s_waitcnt vmcnt(3) lgkmcnt(2)
	v_mul_f64 v[28:29], v[22:23], v[38:39]
	v_mul_f64 v[30:31], v[20:21], v[38:39]
	v_fma_f64 v[8:9], v[8:9], v[32:33], -v[24:25]
	ds_read_b128 v[24:27], v88 offset:28224
	s_waitcnt vmcnt(2) lgkmcnt(2)
	v_mul_f64 v[38:39], v[18:19], v[42:43]
	v_mul_f64 v[32:33], v[16:17], v[42:43]
	s_waitcnt vmcnt(1) lgkmcnt(1)
	v_mul_f64 v[42:43], v[6:7], v[46:47]
	v_mul_f64 v[46:47], v[4:5], v[46:47]
	v_fma_f64 v[76:77], v[20:21], v[36:37], v[28:29]
	s_waitcnt vmcnt(0) lgkmcnt(0)
	v_mul_f64 v[20:21], v[24:25], v[50:51]
	v_fma_f64 v[78:79], v[22:23], v[36:37], -v[30:31]
	v_add_f64 v[22:23], v[52:53], v[56:57]
	v_fma_f64 v[80:81], v[16:17], v[40:41], v[38:39]
	v_mul_f64 v[16:17], v[26:27], v[50:51]
	v_add_f64 v[28:29], v[54:55], v[58:59]
	v_fma_f64 v[91:92], v[4:5], v[44:45], v[42:43]
	v_fma_f64 v[93:94], v[6:7], v[44:45], -v[46:47]
	ds_read_b128 v[4:7], v88
	v_fma_f64 v[97:98], v[26:27], v[48:49], -v[20:21]
	v_add_f64 v[26:27], v[68:69], v[64:65]
	v_fma_f64 v[82:83], v[18:19], v[40:41], -v[32:33]
	v_fma_f64 v[95:96], v[24:25], v[48:49], v[16:17]
	ds_read_b128 v[16:19], v88 offset:2016
	s_waitcnt lgkmcnt(1)
	v_add_f64 v[20:21], v[4:5], v[52:53]
	v_add_f64 v[24:25], v[6:7], v[54:55]
	v_fma_f64 v[4:5], v[22:23], -0.5, v[4:5]
	v_fma_f64 v[6:7], v[28:29], -0.5, v[6:7]
	v_add_f64 v[28:29], v[54:55], -v[58:59]
	v_add_f64 v[30:31], v[70:71], v[66:67]
	v_add_f64 v[32:33], v[52:53], -v[56:57]
	s_waitcnt lgkmcnt(0)
	v_add_f64 v[36:37], v[16:17], v[68:69]
	v_fma_f64 v[38:39], v[26:27], -0.5, v[16:17]
	v_add_f64 v[40:41], v[70:71], -v[66:67]
	v_add_f64 v[42:43], v[18:19], v[70:71]
	v_add_f64 v[48:49], v[72:73], v[74:75]
	v_add_f64 v[22:23], v[24:25], v[58:59]
	v_fma_f64 v[44:45], v[30:31], -0.5, v[18:19]
	v_fma_f64 v[16:17], v[28:29], s[2:3], v[4:5]
	v_fma_f64 v[24:25], v[28:29], s[4:5], v[4:5]
	;; [unrolled: 1-line block ×4, first 2 shown]
	ds_read_b128 v[4:7], v88 offset:4032
	v_add_f64 v[50:51], v[34:35], v[8:9]
	v_add_f64 v[46:47], v[68:69], -v[64:65]
	v_add_f64 v[28:29], v[36:37], v[64:65]
	v_fma_f64 v[32:33], v[40:41], s[2:3], v[38:39]
	v_add_f64 v[30:31], v[42:43], v[66:67]
	v_fma_f64 v[36:37], v[40:41], s[4:5], v[38:39]
	ds_read_b128 v[40:43], v88 offset:6048
	s_waitcnt lgkmcnt(1)
	v_add_f64 v[52:53], v[4:5], v[72:73]
	v_fma_f64 v[4:5], v[48:49], -0.5, v[4:5]
	v_add_f64 v[48:49], v[6:7], v[34:35]
	v_add_f64 v[54:55], v[34:35], -v[8:9]
	v_add_f64 v[20:21], v[20:21], v[56:57]
	v_fma_f64 v[6:7], v[50:51], -0.5, v[6:7]
	v_add_f64 v[56:57], v[72:73], -v[74:75]
	v_fma_f64 v[34:35], v[46:47], s[4:5], v[44:45]
	v_fma_f64 v[38:39], v[46:47], s[2:3], v[44:45]
	v_add_f64 v[44:45], v[52:53], v[74:75]
	v_add_f64 v[58:59], v[76:77], v[80:81]
	;; [unrolled: 1-line block ×3, first 2 shown]
	v_fma_f64 v[48:49], v[54:55], s[2:3], v[4:5]
	v_fma_f64 v[52:53], v[54:55], s[4:5], v[4:5]
	v_add_f64 v[4:5], v[78:79], v[82:83]
	s_waitcnt lgkmcnt(0)
	v_add_f64 v[8:9], v[42:43], v[78:79]
	v_add_f64 v[64:65], v[40:41], v[76:77]
	v_add_f64 v[68:69], v[91:92], v[95:96]
	v_fma_f64 v[50:51], v[56:57], s[4:5], v[6:7]
	v_fma_f64 v[54:55], v[56:57], s[2:3], v[6:7]
	v_add_f64 v[6:7], v[93:94], v[97:98]
	v_fma_f64 v[58:59], v[58:59], -0.5, v[40:41]
	v_add_f64 v[66:67], v[78:79], -v[82:83]
	v_fma_f64 v[4:5], v[4:5], -0.5, v[42:43]
	v_add_f64 v[42:43], v[8:9], v[82:83]
	v_add_f64 v[8:9], v[76:77], -v[80:81]
	v_add_f64 v[40:41], v[64:65], v[80:81]
	v_fma_f64 v[70:71], v[68:69], -0.5, v[60:61]
	v_add_f64 v[64:65], v[62:63], v[93:94]
	v_add_f64 v[68:69], v[60:61], v[91:92]
	v_add_f64 v[72:73], v[93:94], -v[97:98]
	v_fma_f64 v[6:7], v[6:7], -0.5, v[62:63]
	v_add_f64 v[74:75], v[91:92], -v[95:96]
	v_fma_f64 v[56:57], v[66:67], s[2:3], v[58:59]
	v_fma_f64 v[60:61], v[66:67], s[4:5], v[58:59]
	;; [unrolled: 1-line block ×4, first 2 shown]
	v_mul_u32_u24_e32 v8, 0x360, v10
	v_lshlrev_b32_sdwa v9, v90, v11 dst_sel:DWORD dst_unused:UNUSED_PAD src0_sel:DWORD src1_sel:BYTE_0
	v_add3_u32 v8, 0, v8, v9
	v_add_f64 v[66:67], v[64:65], v[97:98]
	v_add_f64 v[64:65], v[68:69], v[95:96]
	s_barrier
	ds_write_b128 v8, v[20:23]
	ds_write_b128 v8, v[16:19] offset:288
	ds_write_b128 v8, v[24:27] offset:576
	v_mul_u32_u24_e32 v8, 0x360, v12
	v_lshlrev_b32_sdwa v9, v90, v13 dst_sel:DWORD dst_unused:UNUSED_PAD src0_sel:DWORD src1_sel:BYTE_0
	v_fma_f64 v[68:69], v[72:73], s[2:3], v[70:71]
	v_fma_f64 v[4:5], v[72:73], s[4:5], v[70:71]
	;; [unrolled: 1-line block ×3, first 2 shown]
	v_add3_u32 v8, 0, v8, v9
	v_fma_f64 v[6:7], v[74:75], s[2:3], v[6:7]
	ds_write_b128 v8, v[28:31]
	ds_write_b128 v8, v[32:35] offset:288
	ds_write_b128 v8, v[36:39] offset:576
	v_mul_u32_u24_e32 v8, 0x360, v14
	v_lshlrev_b32_e32 v9, 4, v15
	v_add3_u32 v8, 0, v8, v9
	ds_write_b128 v8, v[44:47]
	ds_write_b128 v8, v[48:51] offset:288
	ds_write_b128 v8, v[52:55] offset:576
	v_mul_u32_u24_e32 v8, 0x360, v99
	v_lshlrev_b32_e32 v9, 4, v100
	v_add3_u32 v8, 0, v8, v9
	;; [unrolled: 6-line block ×3, first 2 shown]
	ds_write_b128 v8, v[64:67]
	ds_write_b128 v8, v[68:71] offset:288
	ds_write_b128 v8, v[4:7] offset:576
	s_waitcnt lgkmcnt(0)
	s_barrier
	ds_read_b128 v[32:35], v88
	ds_read_b128 v[28:31], v88 offset:2016
	ds_read_b128 v[80:83], v88 offset:4320
	ds_read_b128 v[56:59], v88 offset:6336
	ds_read_b128 v[76:79], v88 offset:8640
	ds_read_b128 v[52:55], v88 offset:10656
	ds_read_b128 v[72:75], v88 offset:12960
	ds_read_b128 v[48:51], v88 offset:14976
	ds_read_b128 v[68:71], v88 offset:17280
	ds_read_b128 v[44:47], v88 offset:19296
	ds_read_b128 v[64:67], v88 offset:21600
	ds_read_b128 v[40:43], v88 offset:23616
	ds_read_b128 v[60:63], v88 offset:25920
	ds_read_b128 v[36:39], v88 offset:27936
                                        ; implicit-def: $vgpr26_vgpr27
                                        ; implicit-def: $vgpr22_vgpr23
                                        ; implicit-def: $vgpr18_vgpr19
                                        ; implicit-def: $vgpr14_vgpr15
                                        ; implicit-def: $vgpr10_vgpr11
	s_and_saveexec_b64 s[2:3], vcc
	s_cbranch_execz .LBB0_23
; %bb.22:
	ds_read_b128 v[4:7], v88 offset:4032
	ds_read_b128 v[0:3], v88 offset:8352
	;; [unrolled: 1-line block ×7, first 2 shown]
.LBB0_23:
	s_or_b64 exec, exec, s[2:3]
	v_mov_b32_e32 v113, 19
	v_mul_lo_u16_sdwa v91, v84, v113 dst_sel:DWORD dst_unused:UNUSED_PAD src0_sel:BYTE_0 src1_sel:DWORD
	v_lshrrev_b16_e32 v91, 10, v91
	v_mul_lo_u16_e32 v92, 54, v91
	v_sub_u16_e32 v92, v84, v92
	v_mov_b32_e32 v114, 6
	v_mul_u32_u24_sdwa v93, v92, v114 dst_sel:DWORD dst_unused:UNUSED_PAD src0_sel:BYTE_0 src1_sel:DWORD
	v_lshlrev_b32_e32 v111, 4, v93
	global_load_dwordx4 v[93:96], v111, s[8:9] offset:880
	global_load_dwordx4 v[97:100], v111, s[8:9] offset:864
	;; [unrolled: 1-line block ×4, first 2 shown]
	s_mov_b32 s2, 0x37e14327
	s_mov_b32 s4, 0x36b3c0b5
	;; [unrolled: 1-line block ×20, first 2 shown]
	s_waitcnt vmcnt(0) lgkmcnt(11)
	v_mul_f64 v[109:110], v[82:83], v[107:108]
	v_fma_f64 v[109:110], v[80:81], v[105:106], v[109:110]
	v_mul_f64 v[80:81], v[80:81], v[107:108]
	v_fma_f64 v[80:81], v[82:83], v[105:106], -v[80:81]
	s_waitcnt lgkmcnt(9)
	v_mul_f64 v[82:83], v[78:79], v[103:104]
	v_fma_f64 v[82:83], v[76:77], v[101:102], v[82:83]
	v_mul_f64 v[76:77], v[76:77], v[103:104]
	v_fma_f64 v[101:102], v[78:79], v[101:102], -v[76:77]
	s_waitcnt lgkmcnt(7)
	v_mul_f64 v[76:77], v[74:75], v[99:100]
	v_fma_f64 v[103:104], v[72:73], v[97:98], v[76:77]
	v_mul_f64 v[72:73], v[72:73], v[99:100]
	v_fma_f64 v[97:98], v[74:75], v[97:98], -v[72:73]
	s_waitcnt lgkmcnt(5)
	v_mul_f64 v[72:73], v[70:71], v[95:96]
	v_fma_f64 v[99:100], v[68:69], v[93:94], v[72:73]
	v_mul_f64 v[68:69], v[68:69], v[95:96]
	v_fma_f64 v[93:94], v[70:71], v[93:94], -v[68:69]
	global_load_dwordx4 v[68:71], v111, s[8:9] offset:912
	global_load_dwordx4 v[72:75], v111, s[8:9] offset:896
	s_waitcnt vmcnt(0) lgkmcnt(3)
	v_mul_f64 v[76:77], v[66:67], v[74:75]
	v_fma_f64 v[95:96], v[64:65], v[72:73], v[76:77]
	v_mul_f64 v[64:65], v[64:65], v[74:75]
	v_fma_f64 v[105:106], v[66:67], v[72:73], -v[64:65]
	s_waitcnt lgkmcnt(1)
	v_mul_f64 v[64:65], v[62:63], v[70:71]
	v_fma_f64 v[107:108], v[60:61], v[68:69], v[64:65]
	v_mul_f64 v[60:61], v[60:61], v[70:71]
	v_fma_f64 v[111:112], v[62:63], v[68:69], -v[60:61]
	v_mul_lo_u16_sdwa v60, v89, v113 dst_sel:DWORD dst_unused:UNUSED_PAD src0_sel:BYTE_0 src1_sel:DWORD
	v_lshrrev_b16_e32 v62, 10, v60
	v_mul_lo_u16_e32 v60, 54, v62
	v_sub_u16_e32 v63, v89, v60
	v_mul_u32_u24_sdwa v60, v63, v114 dst_sel:DWORD dst_unused:UNUSED_PAD src0_sel:BYTE_0 src1_sel:DWORD
	v_lshlrev_b32_e32 v113, 4, v60
	global_load_dwordx4 v[64:67], v113, s[8:9] offset:880
	global_load_dwordx4 v[68:71], v113, s[8:9] offset:864
	;; [unrolled: 1-line block ×4, first 2 shown]
	s_waitcnt vmcnt(0)
	v_mul_f64 v[60:61], v[58:59], v[78:79]
	v_fma_f64 v[60:61], v[56:57], v[76:77], v[60:61]
	v_mul_f64 v[56:57], v[56:57], v[78:79]
	v_add_f64 v[78:79], v[93:94], -v[97:98]
	v_fma_f64 v[58:59], v[58:59], v[76:77], -v[56:57]
	v_mul_f64 v[56:57], v[54:55], v[74:75]
	v_add_f64 v[76:77], v[99:100], -v[103:104]
	v_fma_f64 v[56:57], v[52:53], v[72:73], v[56:57]
	v_mul_f64 v[52:53], v[52:53], v[74:75]
	v_add_f64 v[74:75], v[97:98], v[93:94]
	v_fma_f64 v[54:55], v[54:55], v[72:73], -v[52:53]
	v_mul_f64 v[52:53], v[50:51], v[70:71]
	v_add_f64 v[72:73], v[103:104], v[99:100]
	v_fma_f64 v[52:53], v[48:49], v[68:69], v[52:53]
	v_mul_f64 v[48:49], v[48:49], v[70:71]
	v_fma_f64 v[48:49], v[50:51], v[68:69], -v[48:49]
	v_mul_f64 v[50:51], v[46:47], v[66:67]
	v_fma_f64 v[50:51], v[44:45], v[64:65], v[50:51]
	v_mul_f64 v[44:45], v[44:45], v[66:67]
	v_fma_f64 v[44:45], v[46:47], v[64:65], -v[44:45]
	global_load_dwordx4 v[64:67], v113, s[8:9] offset:912
	global_load_dwordx4 v[68:71], v113, s[8:9] offset:896
	s_waitcnt vmcnt(0) lgkmcnt(0)
	s_barrier
	v_mul_f64 v[46:47], v[42:43], v[70:71]
	v_fma_f64 v[46:47], v[40:41], v[68:69], v[46:47]
	v_mul_f64 v[40:41], v[40:41], v[70:71]
	v_add_f64 v[70:71], v[101:102], -v[105:106]
	v_fma_f64 v[113:114], v[42:43], v[68:69], -v[40:41]
	v_mul_f64 v[40:41], v[38:39], v[66:67]
	v_add_f64 v[42:43], v[80:81], -v[111:112]
	v_add_f64 v[68:69], v[82:83], -v[95:96]
	v_add_f64 v[99:100], v[78:79], v[70:71]
	v_add_f64 v[103:104], v[78:79], -v[70:71]
	v_fma_f64 v[115:116], v[36:37], v[64:65], v[40:41]
	v_mul_f64 v[36:37], v[36:37], v[66:67]
	v_add_f64 v[66:67], v[101:102], v[105:106]
	v_add_f64 v[40:41], v[109:110], -v[107:108]
	v_add_f64 v[97:98], v[76:77], v[68:69]
	v_add_f64 v[101:102], v[76:77], -v[68:69]
	v_add_f64 v[70:71], v[70:71], -v[42:43]
	;; [unrolled: 1-line block ×3, first 2 shown]
	v_add_f64 v[42:43], v[99:100], v[42:43]
	v_fma_f64 v[117:118], v[38:39], v[64:65], -v[36:37]
	v_add_f64 v[36:37], v[109:110], v[107:108]
	v_add_f64 v[38:39], v[80:81], v[111:112]
	;; [unrolled: 1-line block ×3, first 2 shown]
	v_add_f64 v[68:69], v[68:69], -v[40:41]
	v_add_f64 v[76:77], v[40:41], -v[76:77]
	v_add_f64 v[40:41], v[97:98], v[40:41]
	v_mul_f64 v[97:98], v[101:102], s[14:15]
	v_mul_f64 v[99:100], v[103:104], s[14:15]
	;; [unrolled: 1-line block ×3, first 2 shown]
	v_add_f64 v[82:83], v[66:67], v[38:39]
	v_add_f64 v[80:81], v[64:65], v[36:37]
	v_add_f64 v[93:94], v[64:65], -v[36:37]
	v_add_f64 v[95:96], v[66:67], -v[38:39]
	;; [unrolled: 1-line block ×6, first 2 shown]
	v_add_f64 v[74:75], v[74:75], v[82:83]
	v_add_f64 v[72:73], v[72:73], v[80:81]
	v_mul_f64 v[101:102], v[68:69], s[6:7]
	v_fma_f64 v[68:69], v[68:69], s[6:7], -v[97:98]
	v_mul_f64 v[36:37], v[36:37], s[2:3]
	v_mul_f64 v[38:39], v[38:39], s[2:3]
	;; [unrolled: 1-line block ×4, first 2 shown]
	v_add_f64 v[34:35], v[34:35], v[74:75]
	v_add_f64 v[32:33], v[32:33], v[72:73]
	v_fma_f64 v[70:71], v[70:71], s[6:7], -v[99:100]
	v_fma_f64 v[64:65], v[64:65], s[4:5], v[36:37]
	v_fma_f64 v[66:67], v[66:67], s[4:5], v[38:39]
	v_fma_f64 v[80:81], v[93:94], s[16:17], -v[80:81]
	v_fma_f64 v[82:83], v[95:96], s[16:17], -v[82:83]
	v_fma_f64 v[74:75], v[74:75], s[10:11], v[34:35]
	v_fma_f64 v[72:73], v[72:73], s[10:11], v[32:33]
	v_fma_f64 v[36:37], v[93:94], s[18:19], -v[36:37]
	;; [unrolled: 4-line block ×3, first 2 shown]
	v_fma_f64 v[78:79], v[78:79], s[24:25], -v[103:104]
	v_add_f64 v[99:100], v[66:67], v[74:75]
	v_add_f64 v[97:98], v[64:65], v[72:73]
	;; [unrolled: 1-line block ×6, first 2 shown]
	v_fma_f64 v[93:94], v[40:41], s[20:21], v[93:94]
	v_fma_f64 v[95:96], v[42:43], s[20:21], v[95:96]
	;; [unrolled: 1-line block ×6, first 2 shown]
	v_add_f64 v[38:39], v[99:100], -v[93:94]
	v_add_f64 v[36:37], v[95:96], v[97:98]
	v_add_f64 v[66:67], v[101:102], v[82:83]
	v_add_f64 v[64:65], v[80:81], -v[68:69]
	v_add_f64 v[42:43], v[74:75], -v[76:77]
	v_add_f64 v[40:41], v[78:79], v[72:73]
	v_add_f64 v[68:69], v[68:69], v[80:81]
	v_add_f64 v[70:71], v[82:83], -v[101:102]
	v_add_f64 v[72:73], v[72:73], -v[78:79]
	v_add_f64 v[74:75], v[76:77], v[74:75]
	v_add_f64 v[76:77], v[97:98], -v[95:96]
	v_add_f64 v[78:79], v[93:94], v[99:100]
	v_add_f64 v[80:81], v[60:61], v[115:116]
	;; [unrolled: 1-line block ×5, first 2 shown]
	v_add_f64 v[46:47], v[56:57], -v[46:47]
	v_add_f64 v[54:55], v[54:55], -v[113:114]
	v_add_f64 v[56:57], v[52:53], v[50:51]
	v_add_f64 v[97:98], v[48:49], v[44:45]
	v_add_f64 v[50:51], v[50:51], -v[52:53]
	v_add_f64 v[44:45], v[44:45], -v[48:49]
	v_add_f64 v[48:49], v[93:94], v[80:81]
	v_add_f64 v[52:53], v[95:96], v[82:83]
	v_add_f64 v[60:61], v[60:61], -v[115:116]
	v_add_f64 v[58:59], v[58:59], -v[117:118]
	;; [unrolled: 1-line block ×8, first 2 shown]
	v_add_f64 v[103:104], v[50:51], v[46:47]
	v_add_f64 v[105:106], v[44:45], v[54:55]
	v_add_f64 v[107:108], v[50:51], -v[46:47]
	v_add_f64 v[109:110], v[44:45], -v[54:55]
	v_add_f64 v[48:49], v[56:57], v[48:49]
	v_add_f64 v[52:53], v[97:98], v[52:53]
	v_add_f64 v[46:47], v[46:47], -v[60:61]
	v_add_f64 v[54:55], v[54:55], -v[58:59]
	;; [unrolled: 1-line block ×4, first 2 shown]
	v_add_f64 v[56:57], v[103:104], v[60:61]
	v_add_f64 v[58:59], v[105:106], v[58:59]
	;; [unrolled: 1-line block ×4, first 2 shown]
	v_mul_f64 v[60:61], v[80:81], s[2:3]
	v_mul_f64 v[80:81], v[82:83], s[2:3]
	;; [unrolled: 1-line block ×8, first 2 shown]
	v_fma_f64 v[48:49], v[48:49], s[10:11], v[28:29]
	v_fma_f64 v[52:53], v[52:53], s[10:11], v[30:31]
	;; [unrolled: 1-line block ×4, first 2 shown]
	v_fma_f64 v[82:83], v[99:100], s[16:17], -v[82:83]
	v_fma_f64 v[97:98], v[101:102], s[16:17], -v[97:98]
	;; [unrolled: 1-line block ×4, first 2 shown]
	v_fma_f64 v[99:100], v[50:51], s[22:23], v[103:104]
	v_fma_f64 v[101:102], v[44:45], s[22:23], v[105:106]
	v_fma_f64 v[50:51], v[50:51], s[24:25], -v[107:108]
	v_fma_f64 v[44:45], v[44:45], s[24:25], -v[109:110]
	;; [unrolled: 1-line block ×4, first 2 shown]
	v_add_f64 v[93:94], v[93:94], v[48:49]
	v_add_f64 v[95:96], v[95:96], v[52:53]
	v_fma_f64 v[99:100], v[56:57], s[20:21], v[99:100]
	v_fma_f64 v[101:102], v[58:59], s[20:21], v[101:102]
	v_add_f64 v[60:61], v[60:61], v[48:49]
	v_add_f64 v[103:104], v[80:81], v[52:53]
	v_fma_f64 v[107:108], v[56:57], s[20:21], v[50:51]
	v_fma_f64 v[109:110], v[58:59], s[20:21], v[44:45]
	v_add_f64 v[82:83], v[82:83], v[48:49]
	v_add_f64 v[97:98], v[97:98], v[52:53]
	v_fma_f64 v[80:81], v[56:57], s[20:21], v[46:47]
	v_fma_f64 v[105:106], v[58:59], s[20:21], v[54:55]
	v_add_f64 v[44:45], v[101:102], v[93:94]
	v_add_f64 v[46:47], v[95:96], -v[99:100]
	v_add_f64 v[50:51], v[103:104], -v[107:108]
	v_add_f64 v[48:49], v[109:110], v[60:61]
	v_add_f64 v[93:94], v[93:94], -v[101:102]
	v_add_f64 v[95:96], v[99:100], v[95:96]
	v_add_f64 v[54:55], v[80:81], v[97:98]
	v_add_f64 v[52:53], v[82:83], -v[105:106]
	v_add_f64 v[56:57], v[105:106], v[82:83]
	v_add_f64 v[58:59], v[97:98], -v[80:81]
	v_add_f64 v[80:81], v[60:61], -v[109:110]
	v_mul_u32_u24_e32 v60, 0x17a0, v91
	v_lshlrev_b32_sdwa v61, v90, v92 dst_sel:DWORD dst_unused:UNUSED_PAD src0_sel:DWORD src1_sel:BYTE_0
	v_add_f64 v[82:83], v[107:108], v[103:104]
	v_add3_u32 v60, 0, v60, v61
	ds_write_b128 v60, v[32:35]
	ds_write_b128 v60, v[36:39] offset:864
	ds_write_b128 v60, v[40:43] offset:1728
	;; [unrolled: 1-line block ×6, first 2 shown]
	v_mul_u32_u24_e32 v32, 0x17a0, v62
	v_lshlrev_b32_sdwa v33, v90, v63 dst_sel:DWORD dst_unused:UNUSED_PAD src0_sel:DWORD src1_sel:BYTE_0
	v_add3_u32 v32, 0, v32, v33
	ds_write_b128 v32, v[28:31]
	ds_write_b128 v32, v[44:47] offset:864
	ds_write_b128 v32, v[48:51] offset:1728
	;; [unrolled: 1-line block ×6, first 2 shown]
	s_and_saveexec_b64 s[26:27], vcc
	s_cbranch_execz .LBB0_25
; %bb.24:
	v_lshrrev_b16_e32 v28, 1, v85
	v_mul_u32_u24_e32 v28, 0x97b5, v28
	v_lshrrev_b32_e32 v28, 20, v28
	v_mul_lo_u16_e32 v28, 54, v28
	v_sub_u16_e32 v64, v85, v28
	v_mul_u32_u24_e32 v28, 6, v64
	v_lshlrev_b32_e32 v52, 4, v28
	global_load_dwordx4 v[28:31], v52, s[8:9] offset:880
	global_load_dwordx4 v[32:35], v52, s[8:9] offset:864
	;; [unrolled: 1-line block ×6, first 2 shown]
	s_waitcnt vmcnt(5)
	v_mul_f64 v[52:53], v[18:19], v[30:31]
	s_waitcnt vmcnt(4)
	v_mul_f64 v[54:55], v[14:15], v[34:35]
	;; [unrolled: 2-line block ×6, first 2 shown]
	v_mul_f64 v[38:39], v[8:9], v[38:39]
	v_mul_f64 v[42:43], v[20:21], v[42:43]
	;; [unrolled: 1-line block ×6, first 2 shown]
	v_fma_f64 v[8:9], v[8:9], v[36:37], v[56:57]
	v_fma_f64 v[20:21], v[20:21], v[40:41], v[58:59]
	;; [unrolled: 1-line block ×4, first 2 shown]
	v_fma_f64 v[10:11], v[10:11], v[36:37], -v[38:39]
	v_fma_f64 v[22:23], v[22:23], v[40:41], -v[42:43]
	v_fma_f64 v[2:3], v[2:3], v[44:45], -v[46:47]
	v_fma_f64 v[26:27], v[26:27], v[48:49], -v[50:51]
	v_fma_f64 v[16:17], v[16:17], v[28:29], v[52:53]
	v_fma_f64 v[12:13], v[12:13], v[32:33], v[54:55]
	v_fma_f64 v[14:15], v[14:15], v[32:33], -v[34:35]
	v_fma_f64 v[18:19], v[18:19], v[28:29], -v[30:31]
	v_add_f64 v[30:31], v[8:9], -v[20:21]
	v_add_f64 v[32:33], v[0:1], -v[24:25]
	v_add_f64 v[36:37], v[10:11], v[22:23]
	v_add_f64 v[38:39], v[2:3], v[26:27]
	;; [unrolled: 1-line block ×4, first 2 shown]
	v_add_f64 v[28:29], v[16:17], -v[12:13]
	v_add_f64 v[34:35], v[14:15], v[18:19]
	v_add_f64 v[12:13], v[12:13], v[16:17]
	v_add_f64 v[14:15], v[18:19], -v[14:15]
	v_add_f64 v[10:11], v[10:11], -v[22:23]
	;; [unrolled: 1-line block ×3, first 2 shown]
	v_add_f64 v[26:27], v[36:37], v[38:39]
	v_add_f64 v[42:43], v[8:9], v[0:1]
	;; [unrolled: 1-line block ×3, first 2 shown]
	v_add_f64 v[18:19], v[28:29], -v[30:31]
	v_add_f64 v[20:21], v[32:33], -v[28:29]
	;; [unrolled: 1-line block ×5, first 2 shown]
	v_add_f64 v[44:45], v[14:15], v[10:11]
	v_add_f64 v[46:47], v[14:15], -v[10:11]
	v_add_f64 v[26:27], v[34:35], v[26:27]
	v_add_f64 v[12:13], v[12:13], v[42:43]
	v_add_f64 v[22:23], v[34:35], -v[36:37]
	v_add_f64 v[30:31], v[30:31], -v[32:33]
	;; [unrolled: 1-line block ×6, first 2 shown]
	v_mul_f64 v[18:19], v[18:19], s[14:15]
	v_mul_f64 v[24:25], v[24:25], s[2:3]
	v_mul_f64 v[38:39], v[40:41], s[2:3]
	v_add_f64 v[40:41], v[44:45], v[2:3]
	v_mul_f64 v[42:43], v[46:47], s[14:15]
	v_add_f64 v[2:3], v[6:7], v[26:27]
	v_add_f64 v[0:1], v[4:5], v[12:13]
	;; [unrolled: 1-line block ×3, first 2 shown]
	v_mul_f64 v[32:33], v[22:23], s[4:5]
	v_mul_f64 v[44:45], v[30:31], s[6:7]
	;; [unrolled: 1-line block ×4, first 2 shown]
	v_fma_f64 v[48:49], v[20:21], s[22:23], v[18:19]
	v_fma_f64 v[22:23], v[22:23], s[4:5], v[24:25]
	;; [unrolled: 1-line block ×6, first 2 shown]
	v_fma_f64 v[20:21], v[20:21], s[24:25], -v[44:45]
	v_fma_f64 v[24:25], v[36:37], s[18:19], -v[24:25]
	;; [unrolled: 1-line block ×8, first 2 shown]
	v_fma_f64 v[30:31], v[16:17], s[20:21], v[48:49]
	v_fma_f64 v[4:5], v[40:41], s[20:21], v[4:5]
	v_add_f64 v[34:35], v[22:23], v[26:27]
	v_add_f64 v[38:39], v[6:7], v[12:13]
	v_fma_f64 v[20:21], v[16:17], s[20:21], v[20:21]
	v_fma_f64 v[16:17], v[16:17], s[20:21], v[18:19]
	v_add_f64 v[22:23], v[24:25], v[26:27]
	v_add_f64 v[18:19], v[32:33], v[26:27]
	v_fma_f64 v[32:33], v[40:41], s[20:21], v[14:15]
	v_add_f64 v[28:29], v[28:29], v[12:13]
	v_fma_f64 v[36:37], v[40:41], s[20:21], v[10:11]
	v_add_f64 v[8:9], v[8:9], v[12:13]
	v_add_f64 v[26:27], v[34:35], -v[30:31]
	v_add_f64 v[24:25], v[4:5], v[38:39]
	v_add_f64 v[10:11], v[20:21], v[22:23]
	v_add_f64 v[22:23], v[22:23], -v[20:21]
	v_add_f64 v[14:15], v[18:19], -v[16:17]
	v_add_f64 v[20:21], v[32:33], v[28:29]
	v_add_f64 v[18:19], v[16:17], v[18:19]
	v_add_f64 v[16:17], v[8:9], -v[36:37]
	v_add_f64 v[12:13], v[36:37], v[8:9]
	v_add_f64 v[8:9], v[28:29], -v[32:33]
	;; [unrolled: 2-line block ×3, first 2 shown]
	v_lshl_add_u32 v28, v64, 4, 0
	ds_write_b128 v28, v[0:3] offset:24192
	ds_write_b128 v28, v[24:27] offset:25056
	;; [unrolled: 1-line block ×7, first 2 shown]
.LBB0_25:
	s_or_b64 exec, exec, s[26:27]
	v_lshlrev_b32_e32 v0, 2, v84
	v_mov_b32_e32 v1, 0
	v_lshlrev_b64 v[2:3], 4, v[0:1]
	v_mov_b32_e32 v36, s9
	v_add_co_u32_e32 v0, vcc, s8, v2
	v_addc_co_u32_e32 v2, vcc, v36, v3, vcc
	s_movk_i32 s2, 0x1780
	v_add_co_u32_e32 v18, vcc, s2, v0
	v_addc_co_u32_e32 v19, vcc, 0, v2, vcc
	s_movk_i32 s3, 0x1000
	v_add_co_u32_e32 v20, vcc, s3, v0
	v_addc_co_u32_e32 v21, vcc, 0, v2, vcc
	v_lshlrev_b32_e32 v0, 2, v89
	s_waitcnt lgkmcnt(0)
	s_barrier
	global_load_dwordx4 v[2:5], v[20:21], off offset:1920
	global_load_dwordx4 v[6:9], v[18:19], off offset:48
	global_load_dwordx4 v[10:13], v[18:19], off offset:32
	global_load_dwordx4 v[14:17], v[18:19], off offset:16
	v_lshlrev_b64 v[18:19], 4, v[0:1]
	s_mov_b32 s4, 0x4755a5e
	v_add_co_u32_e32 v0, vcc, s8, v18
	v_addc_co_u32_e32 v22, vcc, v36, v19, vcc
	v_add_co_u32_e32 v18, vcc, s3, v0
	v_addc_co_u32_e32 v19, vcc, 0, v22, vcc
	global_load_dwordx4 v[18:21], v[18:19], off offset:1920
	v_add_co_u32_e32 v34, vcc, s2, v0
	v_addc_co_u32_e32 v35, vcc, 0, v22, vcc
	global_load_dwordx4 v[22:25], v[34:35], off offset:48
	global_load_dwordx4 v[26:29], v[34:35], off offset:32
	;; [unrolled: 1-line block ×3, first 2 shown]
	v_lshlrev_b32_e32 v0, 2, v85
	v_lshlrev_b64 v[34:35], 4, v[0:1]
	s_mov_b32 s5, 0xbfe2cf23
	v_add_co_u32_e32 v0, vcc, s8, v34
	v_addc_co_u32_e32 v38, vcc, v36, v35, vcc
	v_add_co_u32_e32 v34, vcc, s3, v0
	v_addc_co_u32_e32 v35, vcc, 0, v38, vcc
	global_load_dwordx4 v[34:37], v[34:35], off offset:1920
	v_add_co_u32_e32 v50, vcc, s2, v0
	v_addc_co_u32_e32 v51, vcc, 0, v38, vcc
	global_load_dwordx4 v[38:41], v[50:51], off offset:16
	global_load_dwordx4 v[42:45], v[50:51], off offset:32
	;; [unrolled: 1-line block ×3, first 2 shown]
	ds_read_b128 v[50:53], v88
	ds_read_b128 v[54:57], v88 offset:2016
	ds_read_b128 v[58:61], v88 offset:12096
	;; [unrolled: 1-line block ×14, first 2 shown]
	s_mov_b32 s2, 0x134454ff
	s_mov_b32 s3, 0xbfee6f0e
	;; [unrolled: 1-line block ×8, first 2 shown]
	s_waitcnt vmcnt(0) lgkmcnt(0)
	s_barrier
	v_mul_f64 v[82:83], v[76:77], v[4:5]
	v_mul_f64 v[4:5], v[74:75], v[4:5]
	;; [unrolled: 1-line block ×5, first 2 shown]
	v_fma_f64 v[74:75], v[74:75], v[2:3], v[82:83]
	v_fma_f64 v[76:77], v[76:77], v[2:3], -v[4:5]
	v_mul_f64 v[2:3], v[97:98], v[12:13]
	v_mul_f64 v[4:5], v[68:69], v[8:9]
	;; [unrolled: 1-line block ×3, first 2 shown]
	v_fma_f64 v[58:59], v[58:59], v[14:15], v[117:118]
	v_mul_f64 v[12:13], v[91:92], v[20:21]
	v_fma_f64 v[16:17], v[60:61], v[14:15], -v[16:17]
	v_mul_f64 v[14:15], v[89:90], v[20:21]
	v_fma_f64 v[20:21], v[97:98], v[10:11], v[119:120]
	v_fma_f64 v[60:61], v[99:100], v[10:11], -v[2:3]
	v_fma_f64 v[4:5], v[66:67], v[6:7], v[4:5]
	v_fma_f64 v[8:9], v[68:69], v[6:7], -v[8:9]
	v_mul_f64 v[2:3], v[64:65], v[32:33]
	v_mul_f64 v[6:7], v[62:63], v[32:33]
	;; [unrolled: 1-line block ×4, first 2 shown]
	v_fma_f64 v[32:33], v[89:90], v[18:19], v[12:13]
	v_mul_f64 v[12:13], v[72:73], v[24:25]
	v_mul_f64 v[24:25], v[70:71], v[24:25]
	v_fma_f64 v[66:67], v[91:92], v[18:19], -v[14:15]
	v_fma_f64 v[62:63], v[62:63], v[30:31], v[2:3]
	v_fma_f64 v[64:65], v[64:65], v[30:31], -v[6:7]
	v_fma_f64 v[68:69], v[105:106], v[26:27], v[10:11]
	v_fma_f64 v[28:29], v[107:108], v[26:27], -v[28:29]
	v_mul_f64 v[2:3], v[95:96], v[36:37]
	v_fma_f64 v[26:27], v[70:71], v[22:23], v[12:13]
	v_mul_f64 v[6:7], v[93:94], v[36:37]
	v_add_f64 v[12:13], v[50:51], v[74:75]
	v_fma_f64 v[70:71], v[72:73], v[22:23], -v[24:25]
	v_mul_f64 v[10:11], v[103:104], v[40:41]
	v_add_f64 v[18:19], v[58:59], v[20:21]
	v_mul_f64 v[22:23], v[109:110], v[44:45]
	v_fma_f64 v[72:73], v[93:94], v[34:35], v[2:3]
	v_mul_f64 v[2:3], v[111:112], v[44:45]
	v_fma_f64 v[44:45], v[95:96], v[34:35], -v[6:7]
	v_add_f64 v[6:7], v[12:13], v[58:59]
	v_mul_f64 v[14:15], v[101:102], v[40:41]
	v_fma_f64 v[82:83], v[101:102], v[38:39], v[10:11]
	v_fma_f64 v[10:11], v[18:19], -0.5, v[50:51]
	v_add_f64 v[12:13], v[76:77], -v[8:9]
	v_add_f64 v[24:25], v[74:75], v[4:5]
	v_fma_f64 v[91:92], v[109:110], v[42:43], v[2:3]
	v_mul_f64 v[2:3], v[115:116], v[48:49]
	v_add_f64 v[6:7], v[6:7], v[20:21]
	v_fma_f64 v[89:90], v[103:104], v[38:39], -v[14:15]
	v_fma_f64 v[93:94], v[111:112], v[42:43], -v[22:23]
	v_mul_f64 v[14:15], v[113:114], v[48:49]
	v_fma_f64 v[18:19], v[12:13], s[2:3], v[10:11]
	v_add_f64 v[22:23], v[16:17], -v[60:61]
	v_add_f64 v[30:31], v[74:75], -v[58:59]
	;; [unrolled: 1-line block ×3, first 2 shown]
	v_fma_f64 v[48:49], v[113:114], v[46:47], v[2:3]
	v_add_f64 v[2:3], v[6:7], v[4:5]
	v_fma_f64 v[6:7], v[24:25], -0.5, v[50:51]
	v_fma_f64 v[95:96], v[115:116], v[46:47], -v[14:15]
	v_add_f64 v[24:25], v[52:53], v[76:77]
	v_fma_f64 v[14:15], v[22:23], s[4:5], v[18:19]
	v_fma_f64 v[10:11], v[12:13], s[6:7], v[10:11]
	v_add_f64 v[18:19], v[30:31], v[34:35]
	v_add_f64 v[30:31], v[16:17], v[60:61]
	v_add_f64 v[36:37], v[58:59], -v[74:75]
	v_fma_f64 v[34:35], v[22:23], s[6:7], v[6:7]
	v_add_f64 v[38:39], v[20:21], -v[4:5]
	v_fma_f64 v[6:7], v[22:23], s[2:3], v[6:7]
	v_add_f64 v[24:25], v[24:25], v[16:17]
	v_add_f64 v[40:41], v[74:75], -v[4:5]
	v_fma_f64 v[4:5], v[22:23], s[8:9], v[10:11]
	v_fma_f64 v[30:31], v[30:31], -0.5, v[52:53]
	v_add_f64 v[20:21], v[58:59], -v[20:21]
	v_fma_f64 v[22:23], v[12:13], s[4:5], v[34:35]
	v_add_f64 v[34:35], v[36:37], v[38:39]
	v_fma_f64 v[12:13], v[12:13], s[8:9], v[6:7]
	v_add_f64 v[38:39], v[76:77], v[8:9]
	v_add_f64 v[24:25], v[24:25], v[60:61]
	v_fma_f64 v[6:7], v[18:19], s[10:11], v[14:15]
	v_fma_f64 v[36:37], v[40:41], s[6:7], v[30:31]
	;; [unrolled: 1-line block ×6, first 2 shown]
	v_fma_f64 v[12:13], v[38:39], -0.5, v[52:53]
	v_add_f64 v[4:5], v[24:25], v[8:9]
	v_add_f64 v[24:25], v[76:77], -v[16:17]
	v_fma_f64 v[22:23], v[20:21], s[8:9], v[36:37]
	v_add_f64 v[34:35], v[8:9], -v[60:61]
	v_add_f64 v[36:37], v[54:55], v[32:33]
	v_add_f64 v[38:39], v[62:63], v[68:69]
	v_add_f64 v[16:17], v[16:17], -v[76:77]
	v_fma_f64 v[42:43], v[20:21], s[2:3], v[12:13]
	v_add_f64 v[8:9], v[60:61], -v[8:9]
	v_fma_f64 v[12:13], v[20:21], s[6:7], v[12:13]
	v_fma_f64 v[20:21], v[20:21], s[4:5], v[30:31]
	v_add_f64 v[24:25], v[24:25], v[34:35]
	v_add_f64 v[34:35], v[36:37], v[62:63]
	v_fma_f64 v[30:31], v[38:39], -0.5, v[54:55]
	v_add_f64 v[46:47], v[32:33], v[26:27]
	v_fma_f64 v[38:39], v[40:41], s[8:9], v[42:43]
	v_add_f64 v[42:43], v[16:17], v[8:9]
	v_add_f64 v[36:37], v[66:67], -v[70:71]
	v_fma_f64 v[40:41], v[40:41], s[4:5], v[12:13]
	v_add_f64 v[50:51], v[64:65], -v[28:29]
	v_add_f64 v[34:35], v[34:35], v[68:69]
	v_fma_f64 v[8:9], v[24:25], s[10:11], v[22:23]
	v_fma_f64 v[12:13], v[24:25], s[10:11], v[20:21]
	v_add_f64 v[58:59], v[68:69], -v[26:27]
	v_fma_f64 v[16:17], v[42:43], s[10:11], v[38:39]
	v_fma_f64 v[38:39], v[46:47], -0.5, v[54:55]
	v_fma_f64 v[24:25], v[36:37], s[2:3], v[30:31]
	v_fma_f64 v[20:21], v[42:43], s[10:11], v[40:41]
	v_add_f64 v[22:23], v[34:35], v[26:27]
	v_add_f64 v[34:35], v[32:33], -v[62:63]
	v_add_f64 v[40:41], v[26:27], -v[68:69]
	v_fma_f64 v[30:31], v[36:37], s[6:7], v[30:31]
	v_add_f64 v[42:43], v[56:57], v[66:67]
	v_add_f64 v[46:47], v[64:65], v[28:29]
	v_fma_f64 v[52:53], v[50:51], s[6:7], v[38:39]
	v_add_f64 v[54:55], v[62:63], -v[32:33]
	v_fma_f64 v[24:25], v[50:51], s[4:5], v[24:25]
	v_fma_f64 v[38:39], v[50:51], s[2:3], v[38:39]
	v_add_f64 v[34:35], v[34:35], v[40:41]
	v_fma_f64 v[30:31], v[50:51], s[8:9], v[30:31]
	v_add_f64 v[40:41], v[42:43], v[64:65]
	v_fma_f64 v[42:43], v[46:47], -0.5, v[56:57]
	v_add_f64 v[32:33], v[32:33], -v[26:27]
	v_fma_f64 v[46:47], v[36:37], s[4:5], v[52:53]
	v_add_f64 v[50:51], v[54:55], v[58:59]
	v_add_f64 v[54:55], v[62:63], -v[68:69]
	v_fma_f64 v[26:27], v[34:35], s[10:11], v[24:25]
	v_fma_f64 v[30:31], v[34:35], s[10:11], v[30:31]
	;; [unrolled: 1-line block ×3, first 2 shown]
	v_add_f64 v[36:37], v[40:41], v[28:29]
	v_add_f64 v[40:41], v[66:67], v[70:71]
	v_fma_f64 v[52:53], v[32:33], s[6:7], v[42:43]
	v_fma_f64 v[34:35], v[50:51], s[10:11], v[46:47]
	v_add_f64 v[46:47], v[82:83], v[91:92]
	v_add_f64 v[58:59], v[66:67], -v[64:65]
	v_add_f64 v[60:61], v[70:71], -v[28:29]
	v_fma_f64 v[38:39], v[50:51], s[10:11], v[24:25]
	v_add_f64 v[24:25], v[36:37], v[70:71]
	v_fma_f64 v[40:41], v[40:41], -0.5, v[56:57]
	v_fma_f64 v[36:37], v[54:55], s[8:9], v[52:53]
	v_add_f64 v[50:51], v[78:79], v[72:73]
	v_fma_f64 v[52:53], v[46:47], -0.5, v[78:79]
	v_add_f64 v[56:57], v[44:45], -v[95:96]
	v_add_f64 v[46:47], v[58:59], v[60:61]
	v_fma_f64 v[42:43], v[32:33], s[2:3], v[42:43]
	v_add_f64 v[60:61], v[64:65], -v[66:67]
	v_add_f64 v[64:65], v[89:90], -v[93:94]
	;; [unrolled: 1-line block ×3, first 2 shown]
	v_add_f64 v[50:51], v[50:51], v[82:83]
	v_add_f64 v[68:69], v[48:49], -v[91:92]
	v_fma_f64 v[62:63], v[56:57], s[2:3], v[52:53]
	v_fma_f64 v[58:59], v[54:55], s[2:3], v[40:41]
	v_add_f64 v[28:29], v[28:29], -v[70:71]
	v_fma_f64 v[40:41], v[54:55], s[6:7], v[40:41]
	v_fma_f64 v[42:43], v[54:55], s[4:5], v[42:43]
	v_add_f64 v[54:55], v[72:73], v[48:49]
	v_add_f64 v[50:51], v[50:51], v[91:92]
	;; [unrolled: 1-line block ×3, first 2 shown]
	v_fma_f64 v[62:63], v[64:65], s[4:5], v[62:63]
	v_fma_f64 v[58:59], v[32:33], s[8:9], v[58:59]
	v_add_f64 v[60:61], v[60:61], v[28:29]
	v_fma_f64 v[40:41], v[32:33], s[4:5], v[40:41]
	v_fma_f64 v[28:29], v[46:47], s[10:11], v[36:37]
	;; [unrolled: 1-line block ×3, first 2 shown]
	v_add_f64 v[42:43], v[50:51], v[48:49]
	v_add_f64 v[50:51], v[89:90], v[93:94]
	v_fma_f64 v[46:47], v[66:67], s[10:11], v[62:63]
	v_add_f64 v[62:63], v[44:45], v[95:96]
	v_fma_f64 v[54:55], v[54:55], -0.5, v[78:79]
	v_fma_f64 v[36:37], v[60:61], s[10:11], v[58:59]
	v_fma_f64 v[40:41], v[60:61], s[10:11], v[40:41]
	;; [unrolled: 1-line block ×3, first 2 shown]
	v_add_f64 v[60:61], v[82:83], -v[72:73]
	v_add_f64 v[68:69], v[91:92], -v[48:49]
	v_add_f64 v[70:71], v[80:81], v[44:45]
	v_fma_f64 v[50:51], v[50:51], -0.5, v[80:81]
	v_add_f64 v[48:49], v[72:73], -v[48:49]
	v_add_f64 v[72:73], v[82:83], -v[91:92]
	v_fma_f64 v[62:63], v[62:63], -0.5, v[80:81]
	v_fma_f64 v[58:59], v[64:65], s[6:7], v[54:55]
	v_fma_f64 v[52:53], v[64:65], s[8:9], v[52:53]
	v_add_f64 v[60:61], v[60:61], v[68:69]
	v_fma_f64 v[54:55], v[64:65], s[2:3], v[54:55]
	v_add_f64 v[64:65], v[70:71], v[89:90]
	v_fma_f64 v[68:69], v[48:49], s[6:7], v[50:51]
	v_add_f64 v[70:71], v[44:45], -v[89:90]
	v_add_f64 v[74:75], v[95:96], -v[93:94]
	v_fma_f64 v[50:51], v[48:49], s[2:3], v[50:51]
	v_fma_f64 v[76:77], v[72:73], s[2:3], v[62:63]
	v_add_f64 v[44:45], v[89:90], -v[44:45]
	v_add_f64 v[78:79], v[93:94], -v[95:96]
	v_fma_f64 v[62:63], v[72:73], s[6:7], v[62:63]
	v_fma_f64 v[58:59], v[56:57], s[4:5], v[58:59]
	;; [unrolled: 1-line block ×3, first 2 shown]
	v_add_f64 v[64:65], v[64:65], v[93:94]
	v_fma_f64 v[68:69], v[72:73], s[8:9], v[68:69]
	v_add_f64 v[70:71], v[70:71], v[74:75]
	v_fma_f64 v[72:73], v[72:73], s[4:5], v[50:51]
	v_fma_f64 v[74:75], v[48:49], s[8:9], v[76:77]
	v_add_f64 v[76:77], v[44:45], v[78:79]
	v_fma_f64 v[62:63], v[48:49], s[4:5], v[62:63]
	v_fma_f64 v[50:51], v[66:67], s[10:11], v[52:53]
	;; [unrolled: 1-line block ×4, first 2 shown]
	v_add_f64 v[44:45], v[64:65], v[95:96]
	v_fma_f64 v[48:49], v[70:71], s[10:11], v[68:69]
	v_fma_f64 v[52:53], v[70:71], s[10:11], v[72:73]
	;; [unrolled: 1-line block ×4, first 2 shown]
	ds_write_b128 v88, v[2:5]
	ds_write_b128 v88, v[6:9] offset:6048
	ds_write_b128 v88, v[14:17] offset:12096
	;; [unrolled: 1-line block ×14, first 2 shown]
	s_waitcnt lgkmcnt(0)
	s_barrier
	s_and_saveexec_b64 s[2:3], s[0:1]
	s_cbranch_execz .LBB0_27
; %bb.26:
	v_lshl_add_u32 v12, v84, 4, 0
	v_mov_b32_e32 v85, v1
	ds_read_b128 v[2:5], v12
	v_mov_b32_e32 v0, s13
	v_add_co_u32_e32 v13, vcc, s12, v86
	v_lshlrev_b64 v[6:7], 4, v[84:85]
	v_addc_co_u32_e32 v14, vcc, v0, v87, vcc
	v_add_co_u32_e32 v10, vcc, v13, v6
	v_addc_co_u32_e32 v11, vcc, v14, v7, vcc
	ds_read_b128 v[6:9], v12 offset:2016
	v_add_u32_e32 v0, 0x7e, v84
	s_waitcnt lgkmcnt(1)
	global_store_dwordx4 v[10:11], v[2:5], off
	s_nop 0
	v_lshlrev_b64 v[2:3], 4, v[0:1]
	v_add_u32_e32 v0, 0xfc, v84
	v_add_co_u32_e32 v2, vcc, v13, v2
	v_addc_co_u32_e32 v3, vcc, v14, v3, vcc
	s_waitcnt lgkmcnt(0)
	global_store_dwordx4 v[2:3], v[6:9], off
	ds_read_b128 v[2:5], v12 offset:4032
	v_lshlrev_b64 v[6:7], 4, v[0:1]
	v_add_u32_e32 v0, 0x17a, v84
	v_add_co_u32_e32 v10, vcc, v13, v6
	v_addc_co_u32_e32 v11, vcc, v14, v7, vcc
	ds_read_b128 v[6:9], v12 offset:6048
	s_waitcnt lgkmcnt(1)
	global_store_dwordx4 v[10:11], v[2:5], off
	s_nop 0
	v_lshlrev_b64 v[2:3], 4, v[0:1]
	v_add_u32_e32 v0, 0x1f8, v84
	v_add_co_u32_e32 v2, vcc, v13, v2
	v_addc_co_u32_e32 v3, vcc, v14, v3, vcc
	s_waitcnt lgkmcnt(0)
	global_store_dwordx4 v[2:3], v[6:9], off
	ds_read_b128 v[2:5], v12 offset:8064
	v_lshlrev_b64 v[6:7], 4, v[0:1]
	v_add_u32_e32 v0, 0x276, v84
	v_add_co_u32_e32 v10, vcc, v13, v6
	v_addc_co_u32_e32 v11, vcc, v14, v7, vcc
	ds_read_b128 v[6:9], v12 offset:10080
	;; [unrolled: 15-line block ×6, first 2 shown]
	s_waitcnt lgkmcnt(1)
	global_store_dwordx4 v[10:11], v[2:5], off
	s_nop 0
	v_lshlrev_b64 v[2:3], 4, v[0:1]
	v_add_u32_e32 v0, 0x6e4, v84
	v_add_co_u32_e32 v2, vcc, v13, v2
	v_addc_co_u32_e32 v3, vcc, v14, v3, vcc
	s_waitcnt lgkmcnt(0)
	global_store_dwordx4 v[2:3], v[6:9], off
	ds_read_b128 v[2:5], v12 offset:28224
	v_lshlrev_b64 v[0:1], 4, v[0:1]
	v_add_co_u32_e32 v0, vcc, v13, v0
	v_addc_co_u32_e32 v1, vcc, v14, v1, vcc
	s_waitcnt lgkmcnt(0)
	global_store_dwordx4 v[0:1], v[2:5], off
.LBB0_27:
	s_endpgm
	.section	.rodata,"a",@progbits
	.p2align	6, 0x0
	.amdhsa_kernel fft_rtc_back_len1890_factors_2_3_3_3_7_5_wgs_126_tpt_126_halfLds_dp_ip_CI_unitstride_sbrr_C2R_dirReg
		.amdhsa_group_segment_fixed_size 0
		.amdhsa_private_segment_fixed_size 0
		.amdhsa_kernarg_size 88
		.amdhsa_user_sgpr_count 6
		.amdhsa_user_sgpr_private_segment_buffer 1
		.amdhsa_user_sgpr_dispatch_ptr 0
		.amdhsa_user_sgpr_queue_ptr 0
		.amdhsa_user_sgpr_kernarg_segment_ptr 1
		.amdhsa_user_sgpr_dispatch_id 0
		.amdhsa_user_sgpr_flat_scratch_init 0
		.amdhsa_user_sgpr_private_segment_size 0
		.amdhsa_uses_dynamic_stack 0
		.amdhsa_system_sgpr_private_segment_wavefront_offset 0
		.amdhsa_system_sgpr_workgroup_id_x 1
		.amdhsa_system_sgpr_workgroup_id_y 0
		.amdhsa_system_sgpr_workgroup_id_z 0
		.amdhsa_system_sgpr_workgroup_info 0
		.amdhsa_system_vgpr_workitem_id 0
		.amdhsa_next_free_vgpr 121
		.amdhsa_next_free_sgpr 28
		.amdhsa_reserve_vcc 1
		.amdhsa_reserve_flat_scratch 0
		.amdhsa_float_round_mode_32 0
		.amdhsa_float_round_mode_16_64 0
		.amdhsa_float_denorm_mode_32 3
		.amdhsa_float_denorm_mode_16_64 3
		.amdhsa_dx10_clamp 1
		.amdhsa_ieee_mode 1
		.amdhsa_fp16_overflow 0
		.amdhsa_exception_fp_ieee_invalid_op 0
		.amdhsa_exception_fp_denorm_src 0
		.amdhsa_exception_fp_ieee_div_zero 0
		.amdhsa_exception_fp_ieee_overflow 0
		.amdhsa_exception_fp_ieee_underflow 0
		.amdhsa_exception_fp_ieee_inexact 0
		.amdhsa_exception_int_div_zero 0
	.end_amdhsa_kernel
	.text
.Lfunc_end0:
	.size	fft_rtc_back_len1890_factors_2_3_3_3_7_5_wgs_126_tpt_126_halfLds_dp_ip_CI_unitstride_sbrr_C2R_dirReg, .Lfunc_end0-fft_rtc_back_len1890_factors_2_3_3_3_7_5_wgs_126_tpt_126_halfLds_dp_ip_CI_unitstride_sbrr_C2R_dirReg
                                        ; -- End function
	.section	.AMDGPU.csdata,"",@progbits
; Kernel info:
; codeLenInByte = 14364
; NumSgprs: 32
; NumVgprs: 121
; ScratchSize: 0
; MemoryBound: 0
; FloatMode: 240
; IeeeMode: 1
; LDSByteSize: 0 bytes/workgroup (compile time only)
; SGPRBlocks: 3
; VGPRBlocks: 30
; NumSGPRsForWavesPerEU: 32
; NumVGPRsForWavesPerEU: 121
; Occupancy: 2
; WaveLimiterHint : 1
; COMPUTE_PGM_RSRC2:SCRATCH_EN: 0
; COMPUTE_PGM_RSRC2:USER_SGPR: 6
; COMPUTE_PGM_RSRC2:TRAP_HANDLER: 0
; COMPUTE_PGM_RSRC2:TGID_X_EN: 1
; COMPUTE_PGM_RSRC2:TGID_Y_EN: 0
; COMPUTE_PGM_RSRC2:TGID_Z_EN: 0
; COMPUTE_PGM_RSRC2:TIDIG_COMP_CNT: 0
	.type	__hip_cuid_8b996e4c6d8c126f,@object ; @__hip_cuid_8b996e4c6d8c126f
	.section	.bss,"aw",@nobits
	.globl	__hip_cuid_8b996e4c6d8c126f
__hip_cuid_8b996e4c6d8c126f:
	.byte	0                               ; 0x0
	.size	__hip_cuid_8b996e4c6d8c126f, 1

	.ident	"AMD clang version 19.0.0git (https://github.com/RadeonOpenCompute/llvm-project roc-6.4.0 25133 c7fe45cf4b819c5991fe208aaa96edf142730f1d)"
	.section	".note.GNU-stack","",@progbits
	.addrsig
	.addrsig_sym __hip_cuid_8b996e4c6d8c126f
	.amdgpu_metadata
---
amdhsa.kernels:
  - .args:
      - .actual_access:  read_only
        .address_space:  global
        .offset:         0
        .size:           8
        .value_kind:     global_buffer
      - .offset:         8
        .size:           8
        .value_kind:     by_value
      - .actual_access:  read_only
        .address_space:  global
        .offset:         16
        .size:           8
        .value_kind:     global_buffer
      - .actual_access:  read_only
        .address_space:  global
        .offset:         24
        .size:           8
        .value_kind:     global_buffer
      - .offset:         32
        .size:           8
        .value_kind:     by_value
      - .actual_access:  read_only
        .address_space:  global
        .offset:         40
        .size:           8
        .value_kind:     global_buffer
      - .actual_access:  read_only
        .address_space:  global
        .offset:         48
        .size:           8
        .value_kind:     global_buffer
      - .offset:         56
        .size:           4
        .value_kind:     by_value
      - .actual_access:  read_only
        .address_space:  global
        .offset:         64
        .size:           8
        .value_kind:     global_buffer
      - .actual_access:  read_only
        .address_space:  global
        .offset:         72
        .size:           8
        .value_kind:     global_buffer
      - .address_space:  global
        .offset:         80
        .size:           8
        .value_kind:     global_buffer
    .group_segment_fixed_size: 0
    .kernarg_segment_align: 8
    .kernarg_segment_size: 88
    .language:       OpenCL C
    .language_version:
      - 2
      - 0
    .max_flat_workgroup_size: 126
    .name:           fft_rtc_back_len1890_factors_2_3_3_3_7_5_wgs_126_tpt_126_halfLds_dp_ip_CI_unitstride_sbrr_C2R_dirReg
    .private_segment_fixed_size: 0
    .sgpr_count:     32
    .sgpr_spill_count: 0
    .symbol:         fft_rtc_back_len1890_factors_2_3_3_3_7_5_wgs_126_tpt_126_halfLds_dp_ip_CI_unitstride_sbrr_C2R_dirReg.kd
    .uniform_work_group_size: 1
    .uses_dynamic_stack: false
    .vgpr_count:     121
    .vgpr_spill_count: 0
    .wavefront_size: 64
amdhsa.target:   amdgcn-amd-amdhsa--gfx906
amdhsa.version:
  - 1
  - 2
...

	.end_amdgpu_metadata
